;; amdgpu-corpus repo=ROCm/rocFFT kind=compiled arch=gfx906 opt=O3
	.text
	.amdgcn_target "amdgcn-amd-amdhsa--gfx906"
	.amdhsa_code_object_version 6
	.protected	bluestein_single_back_len143_dim1_dp_op_CI_CI ; -- Begin function bluestein_single_back_len143_dim1_dp_op_CI_CI
	.globl	bluestein_single_back_len143_dim1_dp_op_CI_CI
	.p2align	8
	.type	bluestein_single_back_len143_dim1_dp_op_CI_CI,@function
bluestein_single_back_len143_dim1_dp_op_CI_CI: ; @bluestein_single_back_len143_dim1_dp_op_CI_CI
; %bb.0:
	v_mul_u32_u24_e32 v1, 0x13b2, v0
	s_load_dwordx4 s[0:3], s[4:5], 0x28
	v_lshrrev_b32_e32 v1, 16, v1
	v_mad_u64_u32 v[104:105], s[6:7], s6, 14, v[1:2]
	v_mov_b32_e32 v105, 0
	s_waitcnt lgkmcnt(0)
	v_cmp_gt_u64_e32 vcc, s[0:1], v[104:105]
	s_and_saveexec_b64 s[0:1], vcc
	s_cbranch_execz .LBB0_15
; %bb.1:
	v_lshrrev_b32_e32 v2, 1, v104
	s_mov_b32 s0, 0x92492493
	v_mul_hi_u32 v2, v2, s0
	s_load_dwordx2 s[6:7], s[4:5], 0x0
	s_load_dwordx2 s[12:13], s[4:5], 0x38
	v_mul_lo_u16_e32 v1, 13, v1
	v_sub_u16_e32 v206, v0, v1
	v_lshrrev_b32_e32 v2, 2, v2
	v_mul_lo_u32 v2, v2, 14
	v_cmp_gt_u16_e32 vcc, 11, v206
	v_lshlrev_b32_e32 v205, 4, v206
	v_sub_u32_e32 v0, v104, v2
	v_mul_u32_u24_e32 v209, 0x8f, v0
	v_lshlrev_b32_e32 v207, 4, v209
	s_and_saveexec_b64 s[14:15], vcc
	s_cbranch_execz .LBB0_3
; %bb.2:
	s_load_dwordx2 s[0:1], s[4:5], 0x18
	s_waitcnt lgkmcnt(0)
	s_load_dwordx4 s[8:11], s[0:1], 0x0
	s_waitcnt lgkmcnt(0)
	v_mad_u64_u32 v[0:1], s[0:1], s10, v104, 0
	v_mad_u64_u32 v[2:3], s[0:1], s8, v206, 0
	;; [unrolled: 1-line block ×4, first 2 shown]
	v_mov_b32_e32 v1, v4
	v_lshlrev_b64 v[0:1], 4, v[0:1]
	v_mov_b32_e32 v3, v5
	v_mov_b32_e32 v6, s3
	v_lshlrev_b64 v[2:3], 4, v[2:3]
	v_add_co_u32_e64 v0, s[0:1], s2, v0
	v_addc_co_u32_e64 v1, s[0:1], v6, v1, s[0:1]
	v_add_co_u32_e64 v16, s[0:1], v0, v2
	v_addc_co_u32_e64 v17, s[0:1], v1, v3, s[0:1]
	s_mul_i32 s0, s9, 0xb0
	s_mul_hi_u32 s2, s8, 0xb0
	s_add_i32 s2, s2, s0
	s_mul_i32 s3, s8, 0xb0
	v_mov_b32_e32 v0, s2
	v_add_co_u32_e64 v18, s[0:1], s3, v16
	v_addc_co_u32_e64 v19, s[0:1], v17, v0, s[0:1]
	global_load_dwordx4 v[0:3], v[16:17], off
	global_load_dwordx4 v[4:7], v[18:19], off
	global_load_dwordx4 v[8:11], v205, s[6:7]
	global_load_dwordx4 v[12:15], v205, s[6:7] offset:176
	v_mov_b32_e32 v16, s2
	v_add_co_u32_e64 v32, s[0:1], s3, v18
	v_addc_co_u32_e64 v33, s[0:1], v19, v16, s[0:1]
	v_add_co_u32_e64 v34, s[0:1], s3, v32
	v_addc_co_u32_e64 v35, s[0:1], v33, v16, s[0:1]
	global_load_dwordx4 v[16:19], v[32:33], off
	global_load_dwordx4 v[20:23], v[34:35], off
	global_load_dwordx4 v[24:27], v205, s[6:7] offset:352
	global_load_dwordx4 v[28:31], v205, s[6:7] offset:528
	v_mov_b32_e32 v32, s2
	v_add_co_u32_e64 v36, s[0:1], s3, v34
	v_addc_co_u32_e64 v37, s[0:1], v35, v32, s[0:1]
	v_mov_b32_e32 v38, s2
	v_add_co_u32_e64 v48, s[0:1], s3, v36
	global_load_dwordx4 v[32:35], v[36:37], off
	v_addc_co_u32_e64 v49, s[0:1], v37, v38, s[0:1]
	global_load_dwordx4 v[36:39], v[48:49], off
	global_load_dwordx4 v[40:43], v205, s[6:7] offset:704
	global_load_dwordx4 v[44:47], v205, s[6:7] offset:880
	v_mov_b32_e32 v50, s2
	v_add_co_u32_e64 v52, s[0:1], s3, v48
	v_addc_co_u32_e64 v53, s[0:1], v49, v50, s[0:1]
	v_mov_b32_e32 v54, s2
	v_add_co_u32_e64 v64, s[0:1], s3, v52
	v_addc_co_u32_e64 v65, s[0:1], v53, v54, s[0:1]
	;; [unrolled: 3-line block ×4, first 2 shown]
	global_load_dwordx4 v[48:51], v[52:53], off
	v_mov_b32_e32 v82, s2
	v_add_co_u32_e64 v84, s[0:1], s3, v80
	global_load_dwordx4 v[52:55], v[64:65], off
	global_load_dwordx4 v[56:59], v205, s[6:7] offset:1056
	global_load_dwordx4 v[60:63], v205, s[6:7] offset:1232
	v_addc_co_u32_e64 v85, s[0:1], v81, v82, s[0:1]
	global_load_dwordx4 v[64:67], v[68:69], off
	v_mov_b32_e32 v86, s2
	v_add_co_u32_e64 v96, s[0:1], s3, v84
	global_load_dwordx4 v[68:71], v[80:81], off
	global_load_dwordx4 v[72:75], v205, s[6:7] offset:1408
	global_load_dwordx4 v[76:79], v205, s[6:7] offset:1584
	v_addc_co_u32_e64 v97, s[0:1], v85, v86, s[0:1]
	;; [unrolled: 7-line block ×3, first 2 shown]
	global_load_dwordx4 v[96:99], v[105:106], off
	global_load_dwordx4 v[100:103], v205, s[6:7] offset:2112
	s_waitcnt vmcnt(23)
	v_mul_f64 v[105:106], v[2:3], v[10:11]
	v_mul_f64 v[10:11], v[0:1], v[10:11]
	v_fma_f64 v[0:1], v[0:1], v[8:9], v[105:106]
	v_fma_f64 v[2:3], v[2:3], v[8:9], -v[10:11]
	s_waitcnt vmcnt(22)
	v_mul_f64 v[8:9], v[6:7], v[14:15]
	v_mul_f64 v[10:11], v[4:5], v[14:15]
	s_waitcnt vmcnt(19)
	v_mul_f64 v[14:15], v[18:19], v[26:27]
	v_mul_f64 v[26:27], v[16:17], v[26:27]
	;; [unrolled: 3-line block ×3, first 2 shown]
	v_fma_f64 v[4:5], v[4:5], v[12:13], v[8:9]
	v_fma_f64 v[6:7], v[6:7], v[12:13], -v[10:11]
	v_fma_f64 v[8:9], v[16:17], v[24:25], v[14:15]
	v_fma_f64 v[10:11], v[18:19], v[24:25], -v[26:27]
	s_waitcnt vmcnt(15)
	v_mul_f64 v[107:108], v[34:35], v[42:43]
	v_mul_f64 v[42:43], v[32:33], v[42:43]
	v_fma_f64 v[12:13], v[20:21], v[28:29], v[105:106]
	v_fma_f64 v[14:15], v[22:23], v[28:29], -v[30:31]
	v_lshl_add_u32 v20, v206, 4, v207
	ds_write_b128 v20, v[0:3]
	s_waitcnt vmcnt(14)
	v_mul_f64 v[0:1], v[38:39], v[46:47]
	v_mul_f64 v[2:3], v[36:37], v[46:47]
	v_fma_f64 v[16:17], v[32:33], v[40:41], v[107:108]
	v_fma_f64 v[18:19], v[34:35], v[40:41], -v[42:43]
	v_add_u32_e32 v32, v207, v205
	ds_write_b128 v32, v[4:7] offset:176
	ds_write_b128 v32, v[8:11] offset:352
	;; [unrolled: 1-line block ×4, first 2 shown]
	v_fma_f64 v[0:1], v[36:37], v[44:45], v[0:1]
	v_fma_f64 v[2:3], v[38:39], v[44:45], -v[2:3]
	s_waitcnt vmcnt(11)
	v_mul_f64 v[4:5], v[50:51], v[58:59]
	v_mul_f64 v[6:7], v[48:49], v[58:59]
	s_waitcnt vmcnt(10)
	v_mul_f64 v[8:9], v[54:55], v[62:63]
	v_mul_f64 v[10:11], v[52:53], v[62:63]
	;; [unrolled: 3-line block ×4, first 2 shown]
	v_fma_f64 v[4:5], v[48:49], v[56:57], v[4:5]
	v_fma_f64 v[6:7], v[50:51], v[56:57], -v[6:7]
	v_fma_f64 v[8:9], v[52:53], v[60:61], v[8:9]
	s_waitcnt vmcnt(3)
	v_mul_f64 v[20:21], v[82:83], v[90:91]
	v_mul_f64 v[22:23], v[80:81], v[90:91]
	s_waitcnt vmcnt(2)
	v_mul_f64 v[24:25], v[86:87], v[94:95]
	v_mul_f64 v[26:27], v[84:85], v[94:95]
	s_waitcnt vmcnt(0)
	v_mul_f64 v[28:29], v[98:99], v[102:103]
	v_mul_f64 v[30:31], v[96:97], v[102:103]
	v_fma_f64 v[10:11], v[54:55], v[60:61], -v[10:11]
	v_fma_f64 v[12:13], v[64:65], v[72:73], v[12:13]
	v_fma_f64 v[14:15], v[66:67], v[72:73], -v[14:15]
	v_fma_f64 v[16:17], v[68:69], v[76:77], v[16:17]
	;; [unrolled: 2-line block ×5, first 2 shown]
	v_fma_f64 v[30:31], v[98:99], v[100:101], -v[30:31]
	ds_write_b128 v32, v[0:3] offset:880
	ds_write_b128 v32, v[4:7] offset:1056
	;; [unrolled: 1-line block ×8, first 2 shown]
.LBB0_3:
	s_or_b64 exec, exec, s[14:15]
	s_load_dwordx2 s[0:1], s[4:5], 0x20
	s_load_dwordx2 s[8:9], s[4:5], 0x8
	s_waitcnt lgkmcnt(0)
	s_barrier
	s_waitcnt lgkmcnt(0)
                                        ; implicit-def: $vgpr8_vgpr9
                                        ; implicit-def: $vgpr12_vgpr13
                                        ; implicit-def: $vgpr16_vgpr17
                                        ; implicit-def: $vgpr20_vgpr21
                                        ; implicit-def: $vgpr24_vgpr25
                                        ; implicit-def: $vgpr28_vgpr29
                                        ; implicit-def: $vgpr32_vgpr33
                                        ; implicit-def: $vgpr36_vgpr37
                                        ; implicit-def: $vgpr40_vgpr41
                                        ; implicit-def: $vgpr44_vgpr45
                                        ; implicit-def: $vgpr48_vgpr49
                                        ; implicit-def: $vgpr52_vgpr53
                                        ; implicit-def: $vgpr56_vgpr57
	s_and_saveexec_b64 s[2:3], vcc
	s_cbranch_execz .LBB0_5
; %bb.4:
	v_lshl_add_u32 v0, v209, 4, v205
	ds_read_b128 v[8:11], v0
	ds_read_b128 v[12:15], v0 offset:176
	ds_read_b128 v[16:19], v0 offset:352
	;; [unrolled: 1-line block ×12, first 2 shown]
.LBB0_5:
	s_or_b64 exec, exec, s[2:3]
	s_waitcnt lgkmcnt(0)
	v_add_f64 v[105:106], v[14:15], -v[58:59]
	s_mov_b32 s18, 0x4267c47c
	s_mov_b32 s19, 0xbfddbe06
	v_add_f64 v[68:69], v[12:13], v[56:57]
	v_add_f64 v[121:122], v[18:19], -v[54:55]
	s_mov_b32 s2, 0xe00740e9
	s_mov_b32 s10, 0x42a4c3d2
	;; [unrolled: 1-line block ×3, first 2 shown]
	v_mul_f64 v[70:71], v[105:106], s[18:19]
	s_mov_b32 s11, 0xbfea55e2
	v_add_f64 v[78:79], v[16:17], v[52:53]
	v_add_f64 v[131:132], v[22:23], -v[50:51]
	v_mul_f64 v[72:73], v[121:122], s[10:11]
	s_mov_b32 s4, 0x1ea71119
	s_mov_b32 s24, 0x66966769
	;; [unrolled: 1-line block ×3, first 2 shown]
	v_fma_f64 v[0:1], v[68:69], s[2:3], v[70:71]
	s_mov_b32 s25, 0xbfefc445
	v_add_f64 v[84:85], v[20:21], v[48:49]
	v_mul_f64 v[80:81], v[131:132], s[24:25]
	v_fma_f64 v[4:5], v[78:79], s[4:5], v[72:73]
	v_add_f64 v[149:150], v[26:27], -v[46:47]
	s_mov_b32 s34, 0x2ef20147
	s_mov_b32 s16, 0xebaa3ed8
	v_add_f64 v[0:1], v[8:9], v[0:1]
	s_mov_b32 s35, 0xbfedeba7
	s_mov_b32 s17, 0x3fbedb7d
	v_add_f64 v[94:95], v[12:13], -v[56:57]
	v_add_f64 v[92:93], v[24:25], v[44:45]
	v_mul_f64 v[86:87], v[149:150], s[34:35]
	s_mov_b32 s14, 0xb2365da1
	s_mov_b32 s15, 0xbfd6b1d8
	v_add_f64 v[0:1], v[4:5], v[0:1]
	v_fma_f64 v[4:5], v[84:85], s[16:17], v[80:81]
	v_add_f64 v[119:120], v[14:15], v[58:59]
	v_add_f64 v[100:101], v[16:17], -v[52:53]
	v_mul_f64 v[76:77], v[94:95], s[18:19]
	v_mul_f64 v[107:108], v[105:106], s[10:11]
	;; [unrolled: 1-line block ×3, first 2 shown]
	v_add_f64 v[143:144], v[18:19], v[54:55]
	v_add_f64 v[90:91], v[20:21], -v[48:49]
	v_add_f64 v[0:1], v[4:5], v[0:1]
	v_fma_f64 v[4:5], v[92:93], s[14:15], v[86:87]
	v_mul_f64 v[74:75], v[100:101], s[10:11]
	v_fma_f64 v[2:3], v[119:120], s[2:3], -v[76:77]
	v_mul_f64 v[111:112], v[121:122], s[34:35]
	v_fma_f64 v[60:61], v[119:120], s[4:5], -v[181:182]
	v_mul_f64 v[133:134], v[100:101], s[34:35]
	s_mov_b32 s38, 0x4bc48dbf
	s_mov_b32 s39, 0xbfcea1e5
	v_add_f64 v[0:1], v[4:5], v[0:1]
	v_fma_f64 v[4:5], v[68:69], s[4:5], v[107:108]
	v_fma_f64 v[6:7], v[143:144], s[4:5], -v[74:75]
	v_add_f64 v[2:3], v[10:11], v[2:3]
	v_add_f64 v[137:138], v[22:23], v[50:51]
	v_mul_f64 v[82:83], v[90:91], s[24:25]
	v_add_f64 v[96:97], v[24:25], -v[44:45]
	v_fma_f64 v[64:65], v[78:79], s[14:15], v[111:112]
	v_add_f64 v[60:61], v[10:11], v[60:61]
	v_add_f64 v[4:5], v[8:9], v[4:5]
	v_fma_f64 v[66:67], v[143:144], s[14:15], -v[133:134]
	v_mul_f64 v[113:114], v[131:132], s[38:39]
	v_mul_f64 v[135:136], v[90:91], s[38:39]
	s_mov_b32 s30, 0x24c2f84
	s_mov_b32 s28, 0x93053d00
	s_mov_b32 s31, 0x3fe5384d
	s_mov_b32 s29, 0xbfef11f4
	v_add_f64 v[2:3], v[6:7], v[2:3]
	v_fma_f64 v[6:7], v[137:138], s[16:17], -v[82:83]
	v_add_f64 v[161:162], v[26:27], v[46:47]
	v_mul_f64 v[88:89], v[96:97], s[34:35]
	v_add_f64 v[177:178], v[30:31], -v[42:43]
	v_add_f64 v[129:130], v[28:29], -v[40:41]
	v_add_f64 v[4:5], v[64:65], v[4:5]
	v_add_f64 v[60:61], v[66:67], v[60:61]
	v_fma_f64 v[64:65], v[84:85], s[28:29], v[113:114]
	v_fma_f64 v[66:67], v[137:138], s[28:29], -v[135:136]
	v_mul_f64 v[115:116], v[149:150], s[30:31]
	v_mul_f64 v[139:140], v[96:97], s[30:31]
	s_mov_b32 s26, 0xd0032e0c
	s_mov_b32 s23, 0xbfe5384d
	;; [unrolled: 1-line block ×6, first 2 shown]
	v_add_f64 v[98:99], v[28:29], v[40:41]
	v_mul_f64 v[102:103], v[177:178], s[22:23]
	v_add_f64 v[2:3], v[6:7], v[2:3]
	v_fma_f64 v[6:7], v[161:162], s[14:15], -v[88:89]
	v_add_f64 v[197:198], v[30:31], v[42:43]
	v_mul_f64 v[109:110], v[129:130], s[22:23]
	v_add_f64 v[195:196], v[34:35], -v[38:39]
	v_add_f64 v[141:142], v[32:33], -v[36:37]
	v_add_f64 v[4:5], v[64:65], v[4:5]
	v_add_f64 v[60:61], v[66:67], v[60:61]
	v_fma_f64 v[64:65], v[92:93], s[26:27], v[115:116]
	v_fma_f64 v[66:67], v[161:162], s[26:27], -v[139:140]
	v_mul_f64 v[125:126], v[177:178], s[42:43]
	v_mul_f64 v[147:148], v[129:130], s[42:43]
	s_mov_b32 s37, 0x3fddbe06
	s_mov_b32 s36, s18
	v_fma_f64 v[62:63], v[98:99], s[26:27], v[102:103]
	v_add_f64 v[2:3], v[6:7], v[2:3]
	v_fma_f64 v[6:7], v[197:198], s[26:27], -v[109:110]
	v_add_f64 v[145:146], v[32:33], v[36:37]
	v_mul_f64 v[117:118], v[195:196], s[38:39]
	v_add_f64 v[201:202], v[34:35], v[38:39]
	v_mul_f64 v[123:124], v[141:142], s[38:39]
	v_add_f64 v[4:5], v[64:65], v[4:5]
	v_add_f64 v[60:61], v[66:67], v[60:61]
	v_fma_f64 v[64:65], v[98:99], s[16:17], v[125:126]
	v_fma_f64 v[66:67], v[197:198], s[16:17], -v[147:148]
	v_mul_f64 v[127:128], v[195:196], s[36:37]
	v_mul_f64 v[151:152], v[141:142], s[36:37]
	v_add_f64 v[0:1], v[62:63], v[0:1]
	v_add_f64 v[2:3], v[6:7], v[2:3]
	v_fma_f64 v[6:7], v[145:146], s[28:29], v[117:118]
	v_fma_f64 v[62:63], v[201:202], s[28:29], -v[123:124]
	v_add_f64 v[64:65], v[64:65], v[4:5]
	v_add_f64 v[60:61], v[66:67], v[60:61]
	v_fma_f64 v[66:67], v[145:146], s[2:3], v[127:128]
	v_fma_f64 v[153:154], v[201:202], s[2:3], -v[151:152]
	v_mul_lo_u16_e32 v208, 13, v206
	v_add_f64 v[4:5], v[6:7], v[0:1]
	v_add_f64 v[6:7], v[62:63], v[2:3]
	s_barrier
	v_add_f64 v[0:1], v[66:67], v[64:65]
	v_add_f64 v[2:3], v[153:154], v[60:61]
	s_and_saveexec_b64 s[20:21], vcc
	s_cbranch_execz .LBB0_7
; %bb.6:
	v_mul_f64 v[60:61], v[119:120], s[28:29]
	v_mul_f64 v[64:65], v[105:106], s[38:39]
	s_mov_b32 s45, 0x3fcea1e5
	s_mov_b32 s44, s38
	v_mul_f64 v[62:63], v[143:144], s[2:3]
	v_mul_f64 v[212:213], v[121:122], s[36:37]
	;; [unrolled: 1-line block ×4, first 2 shown]
	v_fma_f64 v[66:67], v[94:95], s[44:45], v[60:61]
	v_fma_f64 v[214:215], v[68:69], s[28:29], v[64:65]
	;; [unrolled: 1-line block ×3, first 2 shown]
	s_mov_b32 s47, 0x3fea55e2
	v_fma_f64 v[216:217], v[100:101], s[18:19], v[62:63]
	v_fma_f64 v[224:225], v[78:79], s[2:3], v[212:213]
	s_mov_b32 s46, s10
	v_mul_f64 v[220:221], v[161:162], s[4:5]
	v_add_f64 v[66:67], v[10:11], v[66:67]
	v_add_f64 v[214:215], v[8:9], v[214:215]
	v_fma_f64 v[226:227], v[90:91], s[30:31], v[203:204]
	v_fma_f64 v[228:229], v[84:85], s[26:27], v[222:223]
	;; [unrolled: 1-line block ×3, first 2 shown]
	v_add_f64 v[60:61], v[10:11], v[60:61]
	v_mul_f64 v[218:219], v[197:198], s[14:15]
	v_fma_f64 v[203:204], v[90:91], s[22:23], v[203:204]
	v_add_f64 v[66:67], v[216:217], v[66:67]
	v_mul_f64 v[216:217], v[149:150], s[46:47]
	v_add_f64 v[214:215], v[224:225], v[214:215]
	v_fma_f64 v[224:225], v[96:97], s[10:11], v[220:221]
	v_fma_f64 v[64:65], v[68:69], s[28:29], -v[64:65]
	v_add_f64 v[60:61], v[62:63], v[60:61]
	s_mov_b32 s41, 0x3fedeba7
	s_mov_b32 s40, s34
	v_add_f64 v[66:67], v[226:227], v[66:67]
	v_mul_f64 v[226:227], v[177:178], s[34:35]
	v_fma_f64 v[230:231], v[92:93], s[4:5], v[216:217]
	v_add_f64 v[214:215], v[228:229], v[214:215]
	v_fma_f64 v[228:229], v[129:130], s[40:41], v[218:219]
	v_fma_f64 v[220:221], v[96:97], s[46:47], v[220:221]
	v_add_f64 v[60:61], v[203:204], v[60:61]
	v_fma_f64 v[212:213], v[78:79], s[2:3], -v[212:213]
	v_add_f64 v[62:63], v[224:225], v[66:67]
	v_mul_f64 v[66:67], v[195:196], s[42:43]
	v_fma_f64 v[224:225], v[98:99], s[14:15], v[226:227]
	v_add_f64 v[214:215], v[230:231], v[214:215]
	v_add_f64 v[64:65], v[8:9], v[64:65]
	v_mul_f64 v[210:211], v[201:202], s[16:17]
	v_fma_f64 v[218:219], v[129:130], s[34:35], v[218:219]
	v_add_f64 v[220:221], v[220:221], v[60:61]
	v_add_f64 v[62:63], v[228:229], v[62:63]
	v_fma_f64 v[228:229], v[145:146], s[16:17], v[66:67]
	v_fma_f64 v[222:223], v[84:85], s[26:27], -v[222:223]
	v_add_f64 v[214:215], v[224:225], v[214:215]
	v_mul_f64 v[224:225], v[119:120], s[26:27]
	v_add_f64 v[64:65], v[212:213], v[64:65]
	v_mul_f64 v[212:213], v[105:106], s[22:23]
	v_fma_f64 v[230:231], v[141:142], s[24:25], v[210:211]
	v_fma_f64 v[216:217], v[92:93], s[4:5], -v[216:217]
	v_mul_f64 v[236:237], v[161:162], s[28:29]
	v_mul_f64 v[240:241], v[149:150], s[44:45]
	v_add_f64 v[60:61], v[228:229], v[214:215]
	v_add_f64 v[214:215], v[218:219], v[220:221]
	v_mul_f64 v[218:219], v[143:144], s[16:17]
	v_fma_f64 v[220:221], v[94:95], s[30:31], v[224:225]
	v_add_f64 v[64:65], v[222:223], v[64:65]
	v_fma_f64 v[222:223], v[145:146], s[16:17], -v[66:67]
	v_mul_f64 v[228:229], v[121:122], s[42:43]
	v_fma_f64 v[66:67], v[68:69], s[26:27], v[212:213]
	v_add_f64 v[62:63], v[230:231], v[62:63]
	v_mul_f64 v[230:231], v[137:138], s[4:5]
	v_fma_f64 v[232:233], v[100:101], s[24:25], v[218:219]
	v_add_f64 v[220:221], v[10:11], v[220:221]
	v_add_f64 v[64:65], v[216:217], v[64:65]
	v_mul_f64 v[216:217], v[131:132], s[10:11]
	v_fma_f64 v[234:235], v[78:79], s[16:17], v[228:229]
	v_add_f64 v[66:67], v[8:9], v[66:67]
	v_fma_f64 v[224:225], v[94:95], s[22:23], v[224:225]
	v_fma_f64 v[238:239], v[90:91], s[46:47], v[230:231]
	v_fma_f64 v[226:227], v[98:99], s[14:15], -v[226:227]
	v_add_f64 v[220:221], v[232:233], v[220:221]
	v_mul_f64 v[232:233], v[197:198], s[2:3]
	v_fma_f64 v[242:243], v[84:85], s[4:5], v[216:217]
	v_fma_f64 v[218:219], v[100:101], s[42:43], v[218:219]
	v_add_f64 v[66:67], v[234:235], v[66:67]
	v_add_f64 v[224:225], v[10:11], v[224:225]
	v_fma_f64 v[234:235], v[96:97], s[38:39], v[236:237]
	v_mul_f64 v[244:245], v[177:178], s[36:37]
	v_add_f64 v[220:221], v[238:239], v[220:221]
	v_fma_f64 v[246:247], v[92:93], s[28:29], v[240:241]
	v_fma_f64 v[210:211], v[141:142], s[42:43], v[210:211]
	v_mul_f64 v[238:239], v[201:202], s[14:15]
	v_add_f64 v[66:67], v[242:243], v[66:67]
	v_fma_f64 v[230:231], v[90:91], s[10:11], v[230:231]
	v_add_f64 v[218:219], v[218:219], v[224:225]
	v_fma_f64 v[224:225], v[129:130], s[18:19], v[232:233]
	v_add_f64 v[220:221], v[234:235], v[220:221]
	v_add_f64 v[64:65], v[226:227], v[64:65]
	v_mul_f64 v[226:227], v[195:196], s[34:35]
	v_fma_f64 v[234:235], v[98:99], s[2:3], v[244:245]
	v_add_f64 v[242:243], v[246:247], v[66:67]
	v_fma_f64 v[236:237], v[96:97], s[44:45], v[236:237]
	v_add_f64 v[218:219], v[230:231], v[218:219]
	;; [unrolled: 2-line block ×3, first 2 shown]
	v_add_f64 v[66:67], v[210:211], v[214:215]
	v_fma_f64 v[210:211], v[68:69], s[26:27], -v[212:213]
	v_fma_f64 v[214:215], v[145:146], s[14:15], v[226:227]
	v_add_f64 v[224:225], v[234:235], v[242:243]
	v_add_f64 v[64:65], v[222:223], v[64:65]
	v_mul_f64 v[222:223], v[119:120], s[14:15]
	v_fma_f64 v[232:233], v[129:130], s[36:37], v[232:233]
	v_add_f64 v[218:219], v[236:237], v[218:219]
	v_fma_f64 v[228:229], v[78:79], s[16:17], -v[228:229]
	v_add_f64 v[234:235], v[8:9], v[210:211]
	v_add_f64 v[212:213], v[230:231], v[220:221]
	;; [unrolled: 1-line block ×3, first 2 shown]
	v_mul_f64 v[220:221], v[105:106], s[34:35]
	v_mul_f64 v[224:225], v[143:144], s[26:27]
	v_fma_f64 v[230:231], v[94:95], s[40:41], v[222:223]
	v_fma_f64 v[214:215], v[141:142], s[34:35], v[238:239]
	v_fma_f64 v[216:217], v[84:85], s[4:5], -v[216:217]
	v_add_f64 v[228:229], v[228:229], v[234:235]
	v_add_f64 v[218:219], v[232:233], v[218:219]
	v_fma_f64 v[232:233], v[92:93], s[28:29], -v[240:241]
	v_mul_f64 v[234:235], v[121:122], s[30:31]
	v_fma_f64 v[236:237], v[68:69], s[14:15], v[220:221]
	v_fma_f64 v[238:239], v[100:101], s[22:23], v[224:225]
	v_add_f64 v[230:231], v[10:11], v[230:231]
	v_mul_f64 v[240:241], v[137:138], s[2:3]
	v_fma_f64 v[222:223], v[94:95], s[34:35], v[222:223]
	v_add_f64 v[216:217], v[216:217], v[228:229]
	v_mul_f64 v[228:229], v[161:162], s[16:17]
	v_mul_f64 v[242:243], v[131:132], s[36:37]
	v_fma_f64 v[246:247], v[78:79], s[26:27], v[234:235]
	v_add_f64 v[236:237], v[8:9], v[236:237]
	v_add_f64 v[230:231], v[238:239], v[230:231]
	v_fma_f64 v[238:239], v[90:91], s[18:19], v[240:241]
	v_fma_f64 v[224:225], v[100:101], s[30:31], v[224:225]
	v_add_f64 v[222:223], v[10:11], v[222:223]
	v_add_f64 v[216:217], v[232:233], v[216:217]
	v_fma_f64 v[232:233], v[96:97], s[42:43], v[228:229]
	v_fma_f64 v[244:245], v[98:99], s[2:3], -v[244:245]
	v_add_f64 v[236:237], v[246:247], v[236:237]
	v_fma_f64 v[246:247], v[84:85], s[2:3], v[242:243]
	v_add_f64 v[230:231], v[238:239], v[230:231]
	v_mul_f64 v[238:239], v[149:150], s[24:25]
	v_add_f64 v[222:223], v[224:225], v[222:223]
	v_mul_f64 v[224:225], v[197:198], s[28:29]
	v_fma_f64 v[226:227], v[145:146], s[14:15], -v[226:227]
	v_add_f64 v[244:245], v[244:245], v[216:217]
	v_mul_f64 v[248:249], v[177:178], s[44:45]
	v_fma_f64 v[240:241], v[90:91], s[36:37], v[240:241]
	v_add_f64 v[236:237], v[246:247], v[236:237]
	v_fma_f64 v[246:247], v[92:93], s[16:17], v[238:239]
	v_add_f64 v[230:231], v[232:233], v[230:231]
	;; [unrolled: 2-line block ×3, first 2 shown]
	v_add_f64 v[214:215], v[226:227], v[244:245]
	v_mul_f64 v[244:245], v[201:202], s[4:5]
	v_add_f64 v[218:219], v[240:241], v[222:223]
	v_fma_f64 v[222:223], v[98:99], s[28:29], v[248:249]
	v_add_f64 v[236:237], v[246:247], v[236:237]
	v_mul_f64 v[240:241], v[195:196], s[46:47]
	v_add_f64 v[230:231], v[232:233], v[230:231]
	v_mul_f64 v[232:233], v[119:120], s[16:17]
	v_fma_f64 v[220:221], v[68:69], s[14:15], -v[220:221]
	v_mul_f64 v[175:176], v[119:120], s[2:3]
	v_mul_f64 v[199:200], v[119:120], s[4:5]
	;; [unrolled: 1-line block ×4, first 2 shown]
	v_fma_f64 v[228:229], v[96:97], s[24:25], v[228:229]
	v_fma_f64 v[119:120], v[141:142], s[10:11], v[244:245]
	v_add_f64 v[222:223], v[222:223], v[236:237]
	v_fma_f64 v[236:237], v[145:146], s[4:5], v[240:241]
	v_mul_f64 v[143:144], v[143:144], s[28:29]
	v_fma_f64 v[246:247], v[94:95], s[42:43], v[232:233]
	v_fma_f64 v[234:235], v[78:79], s[26:27], -v[234:235]
	v_add_f64 v[250:251], v[8:9], v[220:221]
	v_fma_f64 v[94:95], v[94:95], s[24:25], v[232:233]
	v_add_f64 v[14:15], v[10:11], v[14:15]
	v_add_f64 v[12:13], v[8:9], v[12:13]
	v_mul_f64 v[159:160], v[137:138], s[16:17]
	v_mul_f64 v[185:186], v[137:138], s[28:29]
	v_add_f64 v[228:229], v[228:229], v[218:219]
	v_mul_f64 v[105:106], v[105:106], s[24:25]
	v_add_f64 v[220:221], v[119:120], v[230:231]
	v_add_f64 v[218:219], v[236:237], v[222:223]
	v_fma_f64 v[119:120], v[100:101], s[44:45], v[143:144]
	v_fma_f64 v[236:237], v[84:85], s[2:3], -v[242:243]
	v_add_f64 v[234:235], v[234:235], v[250:251]
	v_mul_f64 v[137:138], v[137:138], s[14:15]
	v_fma_f64 v[100:101], v[100:101], s[38:39], v[143:144]
	v_add_f64 v[94:95], v[10:11], v[94:95]
	v_add_f64 v[181:182], v[181:182], v[199:200]
	;; [unrolled: 1-line block ×4, first 2 shown]
	v_mul_f64 v[165:166], v[68:69], s[2:3]
	v_mul_f64 v[169:170], v[68:69], s[4:5]
	v_mul_f64 v[155:156], v[161:162], s[14:15]
	v_mul_f64 v[193:194], v[161:162], s[26:27]
	v_fma_f64 v[224:225], v[129:130], s[44:45], v[224:225]
	v_mul_f64 v[121:122], v[121:122], s[38:39]
	v_fma_f64 v[222:223], v[68:69], s[16:17], v[105:106]
	v_add_f64 v[234:235], v[236:237], v[234:235]
	v_fma_f64 v[236:237], v[90:91], s[34:35], v[137:138]
	v_mul_f64 v[161:162], v[161:162], s[2:3]
	v_fma_f64 v[90:91], v[90:91], s[40:41], v[137:138]
	v_fma_f64 v[68:69], v[68:69], s[16:17], -v[105:106]
	v_add_f64 v[94:95], v[100:101], v[94:95]
	v_add_f64 v[100:101], v[133:134], v[187:188]
	;; [unrolled: 1-line block ×5, first 2 shown]
	v_mul_f64 v[163:164], v[78:79], s[4:5]
	v_mul_f64 v[173:174], v[78:79], s[14:15]
	;; [unrolled: 1-line block ×4, first 2 shown]
	v_add_f64 v[224:225], v[224:225], v[228:229]
	v_fma_f64 v[228:229], v[78:79], s[28:29], v[121:122]
	v_mul_f64 v[131:132], v[131:132], s[40:41]
	v_mul_f64 v[197:198], v[197:198], s[4:5]
	v_fma_f64 v[16:17], v[96:97], s[36:37], v[161:162]
	v_fma_f64 v[18:19], v[78:79], s[28:29], -v[121:122]
	v_add_f64 v[68:69], v[8:9], v[68:69]
	v_add_f64 v[78:79], v[90:91], v[94:95]
	;; [unrolled: 1-line block ×6, first 2 shown]
	v_fma_f64 v[20:21], v[129:130], s[10:11], v[197:198]
	v_fma_f64 v[22:23], v[84:85], s[14:15], -v[131:132]
	v_add_f64 v[18:19], v[18:19], v[68:69]
	v_add_f64 v[16:17], v[16:17], v[78:79]
	;; [unrolled: 1-line block ×6, first 2 shown]
	v_mul_f64 v[157:158], v[84:85], s[16:17]
	v_add_f64 v[230:231], v[10:11], v[246:247]
	v_add_f64 v[18:19], v[22:23], v[18:19]
	;; [unrolled: 1-line block ×8, first 2 shown]
	v_add_f64 v[32:33], v[169:170], -v[107:108]
	v_mul_f64 v[167:168], v[84:85], s[28:29]
	v_add_f64 v[222:223], v[8:9], v[222:223]
	v_add_f64 v[34:35], v[173:174], -v[111:112]
	v_add_f64 v[20:21], v[20:21], v[22:23]
	v_add_f64 v[22:23], v[165:166], -v[70:71]
	v_add_f64 v[14:15], v[14:15], v[38:39]
	v_add_f64 v[12:13], v[12:13], v[36:37]
	;; [unrolled: 1-line block ×4, first 2 shown]
	v_add_f64 v[68:69], v[163:164], -v[72:73]
	v_mul_f64 v[153:154], v[92:93], s[14:15]
	v_add_f64 v[36:37], v[82:83], v[159:160]
	v_add_f64 v[22:23], v[8:9], v[22:23]
	;; [unrolled: 1-line block ×6, first 2 shown]
	v_add_f64 v[38:39], v[157:158], -v[80:81]
	v_mul_f64 v[183:184], v[92:93], s[26:27]
	v_add_f64 v[32:33], v[167:168], -v[113:114]
	v_add_f64 v[22:23], v[68:69], v[22:23]
	v_add_f64 v[8:9], v[34:35], v[8:9]
	v_mul_f64 v[149:150], v[149:150], s[36:37]
	v_add_f64 v[119:120], v[119:120], v[230:231]
	v_fma_f64 v[238:239], v[92:93], s[16:17], -v[238:239]
	v_fma_f64 v[244:245], v[141:142], s[46:47], v[244:245]
	v_add_f64 v[222:223], v[228:229], v[222:223]
	v_fma_f64 v[246:247], v[84:85], s[14:15], v[131:132]
	v_add_f64 v[14:15], v[14:15], v[46:47]
	v_add_f64 v[12:13], v[12:13], v[44:45]
	v_mul_f64 v[179:180], v[98:99], s[26:27]
	v_add_f64 v[40:41], v[88:89], v[155:156]
	v_add_f64 v[10:11], v[36:37], v[10:11]
	v_add_f64 v[36:37], v[153:154], -v[86:87]
	v_add_f64 v[22:23], v[38:39], v[22:23]
	v_mul_f64 v[191:192], v[98:99], s[16:17]
	v_add_f64 v[34:35], v[183:184], -v[115:116]
	v_add_f64 v[8:9], v[32:33], v[8:9]
	v_mul_f64 v[177:178], v[177:178], s[10:11]
	v_fma_f64 v[26:27], v[92:93], s[2:3], -v[149:150]
	v_mul_f64 v[228:229], v[201:202], s[2:3]
	v_add_f64 v[236:237], v[236:237], v[119:120]
	v_add_f64 v[234:235], v[238:239], v[234:235]
	v_fma_f64 v[238:239], v[96:97], s[18:19], v[161:162]
	v_add_f64 v[119:120], v[244:245], v[224:225]
	v_fma_f64 v[224:225], v[98:99], s[28:29], -v[248:249]
	v_add_f64 v[222:223], v[246:247], v[222:223]
	v_fma_f64 v[244:245], v[92:93], s[2:3], v[149:150]
	v_add_f64 v[14:15], v[14:15], v[50:51]
	v_add_f64 v[12:13], v[12:13], v[48:49]
	v_mul_f64 v[226:227], v[145:146], s[28:29]
	v_mul_f64 v[242:243], v[201:202], s[28:29]
	;; [unrolled: 1-line block ×3, first 2 shown]
	v_add_f64 v[38:39], v[109:110], v[189:190]
	v_add_f64 v[10:11], v[40:41], v[10:11]
	v_add_f64 v[40:41], v[179:180], -v[102:103]
	v_add_f64 v[22:23], v[36:37], v[22:23]
	v_mul_f64 v[230:231], v[145:146], s[2:3]
	v_add_f64 v[32:33], v[191:192], -v[125:126]
	v_add_f64 v[8:9], v[34:35], v[8:9]
	v_mul_f64 v[195:196], v[195:196], s[22:23]
	v_fma_f64 v[30:31], v[98:99], s[4:5], -v[177:178]
	v_add_f64 v[18:19], v[26:27], v[18:19]
	v_add_f64 v[236:237], v[238:239], v[236:237]
	v_fma_f64 v[238:239], v[129:130], s[46:47], v[197:198]
	v_add_f64 v[224:225], v[224:225], v[234:235]
	v_fma_f64 v[234:235], v[98:99], s[4:5], v[177:178]
	v_add_f64 v[222:223], v[244:245], v[222:223]
	v_add_f64 v[26:27], v[151:152], v[228:229]
	;; [unrolled: 1-line block ×4, first 2 shown]
	v_fma_f64 v[24:25], v[141:142], s[22:23], v[201:202]
	v_add_f64 v[36:37], v[123:124], v[242:243]
	v_add_f64 v[38:39], v[38:39], v[10:11]
	v_add_f64 v[42:43], v[226:227], -v[117:118]
	v_add_f64 v[40:41], v[40:41], v[22:23]
	v_add_f64 v[34:35], v[230:231], -v[127:128]
	v_add_f64 v[8:9], v[32:33], v[8:9]
	v_fma_f64 v[28:29], v[145:146], s[26:27], -v[195:196]
	v_add_f64 v[30:31], v[30:31], v[18:19]
	v_fma_f64 v[240:241], v[145:146], s[4:5], -v[240:241]
	v_fma_f64 v[232:233], v[141:142], s[30:31], v[201:202]
	v_add_f64 v[236:237], v[238:239], v[236:237]
	v_fma_f64 v[143:144], v[145:146], s[26:27], v[195:196]
	v_add_f64 v[199:200], v[234:235], v[222:223]
	v_add_f64 v[14:15], v[26:27], v[20:21]
	v_add_f64 v[22:23], v[44:45], v[58:59]
	v_add_f64 v[20:21], v[12:13], v[56:57]
	v_add_f64 v[10:11], v[24:25], v[16:17]
	v_add_f64 v[18:19], v[36:37], v[38:39]
	v_add_f64 v[16:17], v[42:43], v[40:41]
	v_add_f64 v[12:13], v[34:35], v[8:9]
	v_add_f64 v[8:9], v[28:29], v[30:31]
	v_add_f64 v[117:118], v[240:241], v[224:225]
	v_add_lshl_u32 v28, v209, v208, 4
	v_add_f64 v[26:27], v[232:233], v[236:237]
	v_add_f64 v[24:25], v[143:144], v[199:200]
	ds_write_b128 v28, v[20:23]
	ds_write_b128 v28, v[16:19] offset:16
	ds_write_b128 v28, v[12:15] offset:32
	;; [unrolled: 1-line block ×12, first 2 shown]
.LBB0_7:
	s_or_b64 exec, exec, s[20:21]
	v_mul_u32_u24_e32 v8, 10, v206
	v_lshlrev_b32_e32 v48, 4, v8
	s_load_dwordx4 s[0:3], s[0:1], 0x0
	s_waitcnt lgkmcnt(0)
	s_barrier
	global_load_dwordx4 v[44:47], v48, s[8:9]
	global_load_dwordx4 v[36:39], v48, s[8:9] offset:16
	global_load_dwordx4 v[20:23], v48, s[8:9] offset:32
	;; [unrolled: 1-line block ×9, first 2 shown]
	v_add_lshl_u32 v154, v209, v206, 4
	ds_read_b128 v[52:55], v154
	ds_read_b128 v[48:51], v154 offset:208
	ds_read_b128 v[56:59], v154 offset:416
	;; [unrolled: 1-line block ×10, first 2 shown]
	s_mov_b32 s24, 0xf8bb580b
	s_mov_b32 s10, 0x43842ef
	;; [unrolled: 1-line block ×26, first 2 shown]
	v_lshl_add_u32 v153, v206, 4, v207
	s_waitcnt vmcnt(9) lgkmcnt(9)
	v_mul_f64 v[94:95], v[48:49], v[46:47]
	v_mul_f64 v[92:93], v[50:51], v[46:47]
	s_waitcnt vmcnt(8) lgkmcnt(8)
	v_mul_f64 v[98:99], v[56:57], v[38:39]
	v_mul_f64 v[96:97], v[58:59], v[38:39]
	s_waitcnt vmcnt(7) lgkmcnt(7)
	v_mul_f64 v[102:103], v[60:61], v[22:23]
	s_waitcnt vmcnt(6) lgkmcnt(6)
	v_mul_f64 v[107:108], v[64:65], v[14:15]
	v_mul_f64 v[100:101], v[62:63], v[22:23]
	;; [unrolled: 1-line block ×3, first 2 shown]
	s_waitcnt vmcnt(1) lgkmcnt(1)
	v_mul_f64 v[127:128], v[84:85], v[30:31]
	v_fma_f64 v[50:51], v[50:51], v[44:45], v[94:95]
	v_mul_f64 v[125:126], v[86:87], v[30:31]
	v_fma_f64 v[48:49], v[48:49], v[44:45], -v[92:93]
	v_fma_f64 v[58:59], v[58:59], v[36:37], v[98:99]
	v_fma_f64 v[56:57], v[56:57], v[36:37], -v[96:97]
	v_fma_f64 v[62:63], v[62:63], v[20:21], v[102:103]
	v_fma_f64 v[66:67], v[66:67], v[12:13], v[107:108]
	v_fma_f64 v[86:87], v[86:87], v[28:29], v[127:128]
	v_add_f64 v[94:95], v[54:55], v[50:51]
	v_fma_f64 v[84:85], v[84:85], v[28:29], -v[125:126]
	v_add_f64 v[92:93], v[52:53], v[48:49]
	v_mul_f64 v[111:112], v[68:69], v[42:43]
	s_waitcnt vmcnt(0) lgkmcnt(0)
	v_mul_f64 v[131:132], v[88:89], v[34:35]
	v_fma_f64 v[60:61], v[60:61], v[20:21], -v[100:101]
	v_fma_f64 v[64:65], v[64:65], v[12:13], -v[105:106]
	v_add_f64 v[102:103], v[58:59], v[86:87]
	v_add_f64 v[107:108], v[58:59], -v[86:87]
	v_add_f64 v[58:59], v[94:95], v[58:59]
	v_add_f64 v[100:101], v[56:57], v[84:85]
	v_add_f64 v[105:106], v[56:57], -v[84:85]
	v_add_f64 v[56:57], v[92:93], v[56:57]
	v_mul_f64 v[109:110], v[70:71], v[42:43]
	v_mul_f64 v[115:116], v[72:73], v[26:27]
	;; [unrolled: 1-line block ×3, first 2 shown]
	v_fma_f64 v[70:71], v[70:71], v[40:41], v[111:112]
	v_add_f64 v[58:59], v[58:59], v[62:63]
	v_fma_f64 v[90:91], v[90:91], v[32:33], v[131:132]
	v_mul_f64 v[113:114], v[74:75], v[26:27]
	v_add_f64 v[56:57], v[56:57], v[60:61]
	v_mul_f64 v[117:118], v[78:79], v[18:19]
	v_mul_f64 v[119:120], v[76:77], v[18:19]
	v_fma_f64 v[68:69], v[68:69], v[40:41], -v[109:110]
	v_fma_f64 v[74:75], v[74:75], v[24:25], v[115:116]
	v_add_f64 v[58:59], v[58:59], v[66:67]
	v_fma_f64 v[88:89], v[88:89], v[32:33], -v[129:130]
	v_add_f64 v[98:99], v[50:51], v[90:91]
	v_add_f64 v[50:51], v[50:51], -v[90:91]
	v_add_f64 v[56:57], v[56:57], v[64:65]
	v_mul_f64 v[123:124], v[80:81], v[10:11]
	v_fma_f64 v[72:73], v[72:73], v[24:25], -v[113:114]
	v_fma_f64 v[76:77], v[76:77], v[16:17], -v[117:118]
	v_add_f64 v[58:59], v[58:59], v[70:71]
	v_fma_f64 v[78:79], v[78:79], v[16:17], v[119:120]
	v_add_f64 v[96:97], v[48:49], v[88:89]
	v_add_f64 v[48:49], v[48:49], -v[88:89]
	v_mul_f64 v[92:93], v[50:51], s[24:25]
	v_mul_f64 v[109:110], v[50:51], s[14:15]
	;; [unrolled: 1-line block ×5, first 2 shown]
	v_add_f64 v[56:57], v[56:57], v[68:69]
	v_add_f64 v[58:59], v[58:59], v[74:75]
	v_mul_f64 v[121:122], v[82:83], v[10:11]
	v_fma_f64 v[82:83], v[82:83], v[8:9], v[123:124]
	v_mul_f64 v[94:95], v[48:49], s[24:25]
	v_mul_f64 v[111:112], v[48:49], s[14:15]
	v_mul_f64 v[115:116], v[48:49], s[10:11]
	v_mul_f64 v[119:120], v[48:49], s[20:21]
	v_mul_f64 v[48:49], v[48:49], s[26:27]
	v_fma_f64 v[127:128], v[96:97], s[16:17], -v[92:93]
	v_fma_f64 v[92:93], v[96:97], s[16:17], v[92:93]
	v_fma_f64 v[131:132], v[96:97], s[4:5], -v[109:110]
	v_fma_f64 v[109:110], v[96:97], s[4:5], v[109:110]
	v_fma_f64 v[135:136], v[96:97], s[8:9], -v[113:114]
	v_fma_f64 v[113:114], v[96:97], s[8:9], v[113:114]
	v_fma_f64 v[139:140], v[96:97], s[18:19], -v[117:118]
	v_fma_f64 v[117:118], v[96:97], s[18:19], v[117:118]
	v_fma_f64 v[143:144], v[96:97], s[22:23], -v[50:51]
	v_add_f64 v[56:57], v[56:57], v[72:73]
	v_fma_f64 v[96:97], v[96:97], s[22:23], v[50:51]
	v_add_f64 v[50:51], v[58:59], v[78:79]
	v_fma_f64 v[80:81], v[80:81], v[8:9], -v[121:122]
	v_fma_f64 v[129:130], v[98:99], s[16:17], v[94:95]
	v_fma_f64 v[94:95], v[98:99], s[16:17], -v[94:95]
	v_fma_f64 v[133:134], v[98:99], s[4:5], v[111:112]
	;; [unrolled: 2-line block ×5, first 2 shown]
	v_fma_f64 v[98:99], v[98:99], s[22:23], -v[48:49]
	v_add_f64 v[48:49], v[56:57], v[76:77]
	v_add_f64 v[50:51], v[50:51], v[82:83]
	v_mul_f64 v[121:122], v[107:108], s[14:15]
	v_mul_f64 v[125:126], v[107:108], s[20:21]
	v_add_f64 v[92:93], v[52:53], v[92:93]
	v_mul_f64 v[123:124], v[105:106], s[14:15]
	v_add_f64 v[56:57], v[52:53], v[127:128]
	v_add_f64 v[58:59], v[54:55], v[129:130]
	;; [unrolled: 1-line block ×4, first 2 shown]
	v_fma_f64 v[147:148], v[100:101], s[4:5], -v[121:122]
	v_fma_f64 v[121:122], v[100:101], s[4:5], v[121:122]
	v_add_f64 v[94:95], v[54:55], v[94:95]
	v_add_f64 v[127:128], v[52:53], v[131:132]
	;; [unrolled: 1-line block ×6, first 2 shown]
	v_mul_f64 v[90:91], v[105:106], s[20:21]
	v_add_f64 v[111:112], v[54:55], v[111:112]
	v_add_f64 v[131:132], v[52:53], v[135:136]
	;; [unrolled: 1-line block ×12, first 2 shown]
	v_fma_f64 v[88:89], v[100:101], s[18:19], -v[125:126]
	v_add_f64 v[52:53], v[52:53], v[96:97]
	v_add_f64 v[54:55], v[54:55], v[98:99]
	;; [unrolled: 1-line block ×3, first 2 shown]
	v_fma_f64 v[96:97], v[102:103], s[18:19], v[90:91]
	v_mul_f64 v[98:99], v[107:108], s[34:35]
	v_mul_f64 v[121:122], v[105:106], s[34:35]
	v_fma_f64 v[149:150], v[102:103], s[4:5], v[123:124]
	v_fma_f64 v[123:124], v[102:103], s[4:5], -v[123:124]
	v_add_f64 v[88:89], v[88:89], v[127:128]
	v_mul_f64 v[141:142], v[105:106], s[30:31]
	v_fma_f64 v[125:126], v[100:101], s[18:19], v[125:126]
	v_add_f64 v[96:97], v[96:97], v[129:130]
	v_fma_f64 v[127:128], v[100:101], s[22:23], -v[98:99]
	v_fma_f64 v[129:130], v[102:103], s[22:23], v[121:122]
	v_fma_f64 v[98:99], v[100:101], s[22:23], v[98:99]
	v_fma_f64 v[121:122], v[102:103], s[22:23], -v[121:122]
	v_add_f64 v[94:95], v[123:124], v[94:95]
	v_mul_f64 v[123:124], v[107:108], s[30:31]
	v_fma_f64 v[90:91], v[102:103], s[18:19], -v[90:91]
	v_mul_f64 v[107:108], v[107:108], s[28:29]
	v_mul_f64 v[105:106], v[105:106], s[28:29]
	v_add_f64 v[109:110], v[125:126], v[109:110]
	v_add_f64 v[98:99], v[98:99], v[113:114]
	;; [unrolled: 1-line block ×3, first 2 shown]
	v_fma_f64 v[115:116], v[102:103], s[8:9], v[141:142]
	v_fma_f64 v[139:140], v[100:101], s[8:9], -v[123:124]
	v_fma_f64 v[121:122], v[100:101], s[8:9], v[123:124]
	v_add_f64 v[123:124], v[62:63], -v[82:83]
	v_add_f64 v[90:91], v[90:91], v[111:112]
	v_add_f64 v[111:112], v[127:128], v[131:132]
	v_add_f64 v[125:126], v[129:130], v[133:134]
	v_fma_f64 v[127:128], v[102:103], s[8:9], -v[141:142]
	v_add_f64 v[86:87], v[115:116], v[86:87]
	v_add_f64 v[115:116], v[60:61], -v[80:81]
	v_add_f64 v[117:118], v[121:122], v[117:118]
	v_add_f64 v[60:61], v[60:61], v[80:81]
	v_mul_f64 v[80:81], v[123:124], s[10:11]
	v_fma_f64 v[121:122], v[100:101], s[16:17], -v[107:108]
	v_fma_f64 v[129:130], v[102:103], s[16:17], v[105:106]
	v_add_f64 v[62:63], v[62:63], v[82:83]
	v_add_f64 v[56:57], v[147:148], v[56:57]
	v_mul_f64 v[82:83], v[115:116], s[10:11]
	v_add_f64 v[58:59], v[149:150], v[58:59]
	v_add_f64 v[119:120], v[127:128], v[119:120]
	v_fma_f64 v[100:101], v[100:101], s[16:17], v[107:108]
	v_fma_f64 v[102:103], v[102:103], s[16:17], -v[105:106]
	v_fma_f64 v[105:106], v[60:61], s[8:9], -v[80:81]
	v_add_f64 v[107:108], v[121:122], v[135:136]
	v_add_f64 v[121:122], v[129:130], v[137:138]
	v_mul_f64 v[127:128], v[123:124], s[34:35]
	v_mul_f64 v[129:130], v[115:116], s[34:35]
	v_fma_f64 v[131:132], v[62:63], s[8:9], v[82:83]
	s_mov_b32 s15, 0x3fed1bb4
	v_add_f64 v[52:53], v[100:101], v[52:53]
	v_add_f64 v[54:55], v[102:103], v[54:55]
	;; [unrolled: 1-line block ×3, first 2 shown]
	v_fma_f64 v[80:81], v[60:61], s[8:9], v[80:81]
	v_fma_f64 v[82:83], v[62:63], s[8:9], -v[82:83]
	v_fma_f64 v[100:101], v[60:61], s[22:23], -v[127:128]
	v_fma_f64 v[102:103], v[62:63], s[22:23], v[129:130]
	v_add_f64 v[58:59], v[131:132], v[58:59]
	v_mul_f64 v[105:106], v[123:124], s[14:15]
	v_mul_f64 v[131:132], v[115:116], s[14:15]
	v_add_f64 v[84:85], v[139:140], v[84:85]
	v_add_f64 v[80:81], v[80:81], v[92:93]
	;; [unrolled: 1-line block ×5, first 2 shown]
	v_fma_f64 v[94:95], v[60:61], s[22:23], v[127:128]
	v_fma_f64 v[96:97], v[62:63], s[22:23], -v[129:130]
	v_fma_f64 v[100:101], v[60:61], s[4:5], -v[105:106]
	v_fma_f64 v[102:103], v[62:63], s[4:5], v[131:132]
	v_mul_f64 v[127:128], v[123:124], s[24:25]
	v_mul_f64 v[129:130], v[115:116], s[24:25]
	v_fma_f64 v[105:106], v[60:61], s[4:5], v[105:106]
	v_fma_f64 v[131:132], v[62:63], s[4:5], -v[131:132]
	v_add_f64 v[94:95], v[94:95], v[109:110]
	v_add_f64 v[90:91], v[96:97], v[90:91]
	;; [unrolled: 1-line block ×4, first 2 shown]
	v_fma_f64 v[102:103], v[60:61], s[16:17], -v[127:128]
	v_fma_f64 v[109:110], v[62:63], s[16:17], v[129:130]
	v_add_f64 v[98:99], v[105:106], v[98:99]
	v_add_f64 v[105:106], v[131:132], v[113:114]
	v_mul_f64 v[113:114], v[115:116], s[20:21]
	v_mul_f64 v[111:112], v[123:124], s[20:21]
	v_fma_f64 v[115:116], v[60:61], s[16:17], v[127:128]
	v_fma_f64 v[123:124], v[62:63], s[16:17], -v[129:130]
	v_add_f64 v[84:85], v[102:103], v[84:85]
	v_add_f64 v[86:87], v[109:110], v[86:87]
	v_add_f64 v[102:103], v[66:67], -v[78:79]
	v_add_f64 v[109:110], v[64:65], -v[76:77]
	v_fma_f64 v[127:128], v[62:63], s[18:19], v[113:114]
	v_add_f64 v[64:65], v[64:65], v[76:77]
	v_add_f64 v[66:67], v[66:67], v[78:79]
	;; [unrolled: 1-line block ×4, first 2 shown]
	v_fma_f64 v[125:126], v[60:61], s[18:19], -v[111:112]
	v_mul_f64 v[76:77], v[102:103], s[20:21]
	v_mul_f64 v[78:79], v[109:110], s[20:21]
	v_add_f64 v[119:120], v[127:128], v[121:122]
	v_fma_f64 v[60:61], v[60:61], s[18:19], v[111:112]
	v_fma_f64 v[62:63], v[62:63], s[18:19], -v[113:114]
	v_mul_f64 v[111:112], v[102:103], s[30:31]
	v_mul_f64 v[113:114], v[109:110], s[30:31]
	v_add_f64 v[107:108], v[125:126], v[107:108]
	v_fma_f64 v[121:122], v[64:65], s[18:19], -v[76:77]
	v_fma_f64 v[123:124], v[66:67], s[18:19], v[78:79]
	v_fma_f64 v[76:77], v[64:65], s[18:19], v[76:77]
	v_fma_f64 v[78:79], v[66:67], s[18:19], -v[78:79]
	v_add_f64 v[52:53], v[60:61], v[52:53]
	v_add_f64 v[54:55], v[62:63], v[54:55]
	v_fma_f64 v[60:61], v[64:65], s[8:9], -v[111:112]
	v_fma_f64 v[62:63], v[66:67], s[8:9], v[113:114]
	v_add_f64 v[56:57], v[121:122], v[56:57]
	v_add_f64 v[58:59], v[123:124], v[58:59]
	v_add_f64 v[76:77], v[76:77], v[80:81]
	v_add_f64 v[78:79], v[78:79], v[82:83]
	v_mul_f64 v[80:81], v[102:103], s[24:25]
	v_mul_f64 v[82:83], v[109:110], s[24:25]
	v_add_f64 v[88:89], v[60:61], v[88:89]
	v_add_f64 v[92:93], v[62:63], v[92:93]
	v_mul_f64 v[60:61], v[102:103], s[26:27]
	v_mul_f64 v[62:63], v[109:110], s[26:27]
	v_fma_f64 v[111:112], v[64:65], s[8:9], v[111:112]
	v_fma_f64 v[113:114], v[66:67], s[8:9], -v[113:114]
	v_fma_f64 v[121:122], v[64:65], s[16:17], -v[80:81]
	v_fma_f64 v[123:124], v[66:67], s[16:17], v[82:83]
	v_fma_f64 v[80:81], v[64:65], s[16:17], v[80:81]
	v_fma_f64 v[82:83], v[66:67], s[16:17], -v[82:83]
	v_fma_f64 v[125:126], v[64:65], s[22:23], -v[60:61]
	v_fma_f64 v[127:128], v[66:67], s[22:23], v[62:63]
	v_add_f64 v[94:95], v[111:112], v[94:95]
	v_add_f64 v[90:91], v[113:114], v[90:91]
	v_mul_f64 v[102:103], v[102:103], s[14:15]
	v_mul_f64 v[109:110], v[109:110], s[14:15]
	v_add_f64 v[80:81], v[80:81], v[98:99]
	v_add_f64 v[82:83], v[82:83], v[105:106]
	v_add_f64 v[98:99], v[70:71], -v[74:75]
	v_add_f64 v[105:106], v[68:69], -v[72:73]
	v_fma_f64 v[60:61], v[64:65], s[22:23], v[60:61]
	v_fma_f64 v[62:63], v[66:67], s[22:23], -v[62:63]
	v_add_f64 v[111:112], v[68:69], v[72:73]
	v_add_f64 v[113:114], v[70:71], v[74:75]
	v_fma_f64 v[72:73], v[64:65], s[4:5], -v[102:103]
	v_fma_f64 v[74:75], v[66:67], s[4:5], v[109:110]
	v_mul_f64 v[68:69], v[98:99], s[26:27]
	v_mul_f64 v[70:71], v[105:106], s[26:27]
	v_add_f64 v[115:116], v[60:61], v[115:116]
	v_add_f64 v[117:118], v[62:63], v[117:118]
	v_fma_f64 v[60:61], v[64:65], s[4:5], v[102:103]
	v_fma_f64 v[62:63], v[66:67], s[4:5], -v[109:110]
	v_add_f64 v[102:103], v[72:73], v[107:108]
	v_add_f64 v[107:108], v[74:75], v[119:120]
	v_fma_f64 v[64:65], v[111:112], s[22:23], -v[68:69]
	v_fma_f64 v[66:67], v[113:114], s[22:23], v[70:71]
	v_mul_f64 v[72:73], v[98:99], s[28:29]
	v_mul_f64 v[74:75], v[105:106], s[28:29]
	v_add_f64 v[109:110], v[60:61], v[52:53]
	v_add_f64 v[119:120], v[62:63], v[54:55]
	;; [unrolled: 1-line block ×6, first 2 shown]
	v_fma_f64 v[56:57], v[111:112], s[22:23], v[68:69]
	v_fma_f64 v[58:59], v[113:114], s[22:23], -v[70:71]
	v_mul_f64 v[68:69], v[98:99], s[20:21]
	v_mul_f64 v[70:71], v[105:106], s[20:21]
	v_fma_f64 v[64:65], v[111:112], s[16:17], -v[72:73]
	v_fma_f64 v[66:67], v[113:114], s[16:17], v[74:75]
	v_fma_f64 v[72:73], v[111:112], s[16:17], v[72:73]
	v_fma_f64 v[74:75], v[113:114], s[16:17], -v[74:75]
	v_add_f64 v[60:61], v[56:57], v[76:77]
	v_add_f64 v[62:63], v[58:59], v[78:79]
	v_fma_f64 v[76:77], v[111:112], s[18:19], -v[68:69]
	v_fma_f64 v[78:79], v[113:114], s[18:19], v[70:71]
	v_add_f64 v[56:57], v[64:65], v[88:89]
	v_add_f64 v[58:59], v[66:67], v[92:93]
	;; [unrolled: 1-line block ×4, first 2 shown]
	v_fma_f64 v[72:73], v[111:112], s[18:19], v[68:69]
	v_fma_f64 v[74:75], v[113:114], s[18:19], -v[70:71]
	v_mul_f64 v[88:89], v[98:99], s[14:15]
	v_mul_f64 v[90:91], v[105:106], s[14:15]
	v_add_f64 v[68:69], v[76:77], v[96:97]
	v_add_f64 v[70:71], v[78:79], v[100:101]
	v_mul_f64 v[76:77], v[98:99], s[10:11]
	v_mul_f64 v[78:79], v[105:106], s[10:11]
	v_add_f64 v[84:85], v[125:126], v[84:85]
	v_add_f64 v[86:87], v[127:128], v[86:87]
	;; [unrolled: 1-line block ×4, first 2 shown]
	v_fma_f64 v[80:81], v[111:112], s[4:5], -v[88:89]
	v_fma_f64 v[82:83], v[113:114], s[4:5], v[90:91]
	v_fma_f64 v[88:89], v[111:112], s[4:5], v[88:89]
	v_fma_f64 v[90:91], v[113:114], s[4:5], -v[90:91]
	v_fma_f64 v[92:93], v[111:112], s[8:9], -v[76:77]
	v_fma_f64 v[94:95], v[113:114], s[8:9], v[78:79]
	v_fma_f64 v[96:97], v[111:112], s[8:9], v[76:77]
	v_fma_f64 v[98:99], v[113:114], s[8:9], -v[78:79]
	v_add_f64 v[76:77], v[80:81], v[84:85]
	v_add_f64 v[78:79], v[82:83], v[86:87]
	;; [unrolled: 1-line block ×8, first 2 shown]
	ds_write_b128 v153, v[48:51]
	ds_write_b128 v153, v[52:55] offset:208
	ds_write_b128 v153, v[56:59] offset:416
	;; [unrolled: 1-line block ×10, first 2 shown]
	s_waitcnt lgkmcnt(0)
	s_barrier
	s_and_saveexec_b64 s[4:5], vcc
	s_cbranch_execz .LBB0_9
; %bb.8:
	global_load_dwordx4 v[92:95], v205, s[6:7] offset:2288
	s_add_u32 s8, s6, 0x8f0
	s_addc_u32 s9, s7, 0
	global_load_dwordx4 v[96:99], v205, s[8:9] offset:176
	global_load_dwordx4 v[100:103], v205, s[8:9] offset:352
	;; [unrolled: 1-line block ×12, first 2 shown]
	ds_read_b128 v[145:148], v153
	ds_read_b128 v[149:152], v153 offset:176
	ds_read_b128 v[155:158], v153 offset:352
	;; [unrolled: 1-line block ×12, first 2 shown]
	s_waitcnt vmcnt(11) lgkmcnt(11)
	v_mul_f64 v[201:202], v[151:152], v[98:99]
	v_mul_f64 v[98:99], v[149:150], v[98:99]
	s_waitcnt vmcnt(10) lgkmcnt(10)
	v_mul_f64 v[203:204], v[157:158], v[102:103]
	v_mul_f64 v[102:103], v[155:156], v[102:103]
	;; [unrolled: 3-line block ×4, first 2 shown]
	v_mul_f64 v[199:200], v[147:148], v[94:95]
	v_mul_f64 v[94:95], v[145:146], v[94:95]
	s_waitcnt vmcnt(7) lgkmcnt(7)
	v_mul_f64 v[213:214], v[169:170], v[115:116]
	v_mul_f64 v[115:116], v[167:168], v[115:116]
	s_waitcnt vmcnt(6) lgkmcnt(6)
	;; [unrolled: 3-line block ×8, first 2 shown]
	v_mul_f64 v[227:228], v[197:198], v[143:144]
	v_mul_f64 v[229:230], v[195:196], v[143:144]
	v_fma_f64 v[143:144], v[145:146], v[92:93], -v[199:200]
	v_fma_f64 v[145:146], v[147:148], v[92:93], v[94:95]
	v_fma_f64 v[92:93], v[149:150], v[96:97], -v[201:202]
	v_fma_f64 v[94:95], v[151:152], v[96:97], v[98:99]
	v_fma_f64 v[96:97], v[155:156], v[100:101], -v[203:204]
	v_fma_f64 v[98:99], v[157:158], v[100:101], v[102:103]
	v_fma_f64 v[100:101], v[159:160], v[105:106], -v[209:210]
	v_fma_f64 v[102:103], v[161:162], v[105:106], v[107:108]
	v_fma_f64 v[105:106], v[163:164], v[109:110], -v[211:212]
	v_fma_f64 v[107:108], v[165:166], v[109:110], v[111:112]
	v_fma_f64 v[109:110], v[167:168], v[113:114], -v[213:214]
	v_fma_f64 v[111:112], v[169:170], v[113:114], v[115:116]
	v_fma_f64 v[113:114], v[171:172], v[117:118], -v[215:216]
	v_fma_f64 v[115:116], v[173:174], v[117:118], v[119:120]
	v_fma_f64 v[117:118], v[175:176], v[121:122], -v[217:218]
	v_fma_f64 v[119:120], v[177:178], v[121:122], v[123:124]
	v_fma_f64 v[121:122], v[179:180], v[125:126], -v[219:220]
	v_fma_f64 v[123:124], v[181:182], v[125:126], v[127:128]
	v_fma_f64 v[125:126], v[183:184], v[129:130], -v[221:222]
	v_fma_f64 v[127:128], v[185:186], v[129:130], v[131:132]
	v_fma_f64 v[129:130], v[187:188], v[133:134], -v[223:224]
	v_fma_f64 v[131:132], v[189:190], v[133:134], v[135:136]
	v_fma_f64 v[133:134], v[191:192], v[137:138], -v[225:226]
	v_fma_f64 v[135:136], v[193:194], v[137:138], v[139:140]
	v_fma_f64 v[137:138], v[195:196], v[141:142], -v[227:228]
	v_fma_f64 v[139:140], v[197:198], v[141:142], v[229:230]
	ds_write_b128 v153, v[143:146]
	ds_write_b128 v153, v[92:95] offset:176
	ds_write_b128 v153, v[96:99] offset:352
	;; [unrolled: 1-line block ×12, first 2 shown]
.LBB0_9:
	s_or_b64 exec, exec, s[4:5]
	s_waitcnt lgkmcnt(0)
	s_barrier
	s_and_saveexec_b64 s[4:5], vcc
	s_cbranch_execz .LBB0_11
; %bb.10:
	ds_read_b128 v[48:51], v153
	ds_read_b128 v[52:55], v153 offset:176
	ds_read_b128 v[56:59], v153 offset:352
	;; [unrolled: 1-line block ×12, first 2 shown]
.LBB0_11:
	s_or_b64 exec, exec, s[4:5]
	s_waitcnt lgkmcnt(0)
	s_barrier
	s_and_saveexec_b64 s[4:5], vcc
	s_cbranch_execz .LBB0_13
; %bb.12:
	v_add_f64 v[151:152], v[52:53], -v[4:5]
	s_mov_b32 s18, 0x4bc48dbf
	s_mov_b32 s19, 0xbfcea1e5
	v_add_f64 v[149:150], v[56:57], -v[0:1]
	v_add_f64 v[119:120], v[54:55], v[6:7]
	s_mov_b32 s16, 0x93053d00
	s_mov_b32 s21, 0x3fddbe06
	;; [unrolled: 1-line block ×3, first 2 shown]
	v_mul_f64 v[100:101], v[151:152], s[18:19]
	s_mov_b32 s17, 0xbfef11f4
	v_add_f64 v[123:124], v[68:69], -v[60:61]
	v_mul_f64 v[102:103], v[149:150], s[20:21]
	v_add_f64 v[115:116], v[58:59], v[2:3]
	v_add_f64 v[131:132], v[54:55], -v[6:7]
	s_mov_b32 s26, 0x24c2f84
	s_mov_b32 s22, 0xe00740e9
	v_fma_f64 v[121:122], v[119:120], s[16:17], v[100:101]
	s_mov_b32 s27, 0xbfe5384d
	s_mov_b32 s23, 0x3fec55a7
	v_add_f64 v[113:114], v[76:77], -v[64:65]
	v_mul_f64 v[135:136], v[123:124], s[26:27]
	v_add_f64 v[117:118], v[70:71], v[62:63]
	v_fma_f64 v[125:126], v[115:116], s[22:23], v[102:103]
	v_add_f64 v[129:130], v[58:59], -v[2:3]
	v_add_f64 v[133:134], v[50:51], v[121:122]
	v_add_f64 v[127:128], v[52:53], v[4:5]
	v_mul_f64 v[141:142], v[131:132], s[18:19]
	s_mov_b32 s38, 0x42a4c3d2
	s_mov_b32 s24, 0xd0032e0c
	;; [unrolled: 1-line block ×4, first 2 shown]
	v_mul_f64 v[98:99], v[113:114], s[38:39]
	v_add_f64 v[121:122], v[78:79], v[66:67]
	v_fma_f64 v[137:138], v[117:118], s[24:25], v[135:136]
	v_add_f64 v[139:140], v[125:126], v[133:134]
	v_add_f64 v[133:134], v[70:71], -v[62:63]
	v_add_f64 v[125:126], v[56:57], v[0:1]
	v_mul_f64 v[155:156], v[129:130], s[20:21]
	v_fma_f64 v[145:146], v[127:128], s[16:17], -v[141:142]
	v_fma_f64 v[100:101], v[119:120], s[16:17], -v[100:101]
	s_mov_b32 s28, 0x1ea71119
	s_mov_b32 s29, 0x3fe22d96
	v_add_f64 v[111:112], v[80:81], -v[72:73]
	v_fma_f64 v[147:148], v[121:122], s[28:29], v[98:99]
	v_add_f64 v[137:138], v[137:138], v[139:140]
	v_add_f64 v[143:144], v[78:79], -v[66:67]
	v_add_f64 v[139:140], v[68:69], v[60:61]
	v_mul_f64 v[157:158], v[133:134], s[26:27]
	v_fma_f64 v[159:160], v[125:126], s[22:23], -v[155:156]
	v_add_f64 v[161:162], v[48:49], v[145:146]
	v_fma_f64 v[102:103], v[115:116], s[22:23], -v[102:103]
	v_add_f64 v[100:101], v[50:51], v[100:101]
	s_mov_b32 s14, 0x2ef20147
	s_mov_b32 s15, 0xbfedeba7
	v_add_f64 v[109:110], v[88:89], -v[84:85]
	v_add_f64 v[107:108], v[82:83], v[74:75]
	v_mul_f64 v[92:93], v[111:112], s[14:15]
	v_add_f64 v[163:164], v[147:148], v[137:138]
	v_add_f64 v[145:146], v[82:83], -v[74:75]
	v_add_f64 v[137:138], v[76:77], v[64:65]
	v_mul_f64 v[165:166], v[143:144], s[38:39]
	v_fma_f64 v[167:168], v[139:140], s[24:25], -v[157:158]
	v_add_f64 v[159:160], v[159:160], v[161:162]
	v_fma_f64 v[161:162], v[117:118], s[24:25], -v[135:136]
	v_add_f64 v[100:101], v[102:103], v[100:101]
	v_fma_f64 v[171:172], v[127:128], s[16:17], v[141:142]
	s_mov_b32 s30, 0x66966769
	s_mov_b32 s10, 0xb2365da1
	;; [unrolled: 1-line block ×4, first 2 shown]
	v_add_f64 v[105:106], v[90:91], v[86:87]
	v_mul_f64 v[94:95], v[109:110], s[30:31]
	v_fma_f64 v[96:97], v[107:108], s[10:11], v[92:93]
	v_add_f64 v[147:148], v[90:91], -v[86:87]
	v_add_f64 v[135:136], v[80:81], v[72:73]
	v_mul_f64 v[102:103], v[145:146], s[14:15]
	v_fma_f64 v[169:170], v[137:138], s[28:29], -v[165:166]
	v_add_f64 v[159:160], v[167:168], v[159:160]
	v_fma_f64 v[98:99], v[121:122], s[28:29], -v[98:99]
	v_add_f64 v[100:101], v[161:162], v[100:101]
	v_fma_f64 v[155:156], v[125:126], s[22:23], v[155:156]
	v_add_f64 v[171:172], v[48:49], v[171:172]
	s_mov_b32 s8, 0xebaa3ed8
	s_mov_b32 s9, 0x3fbedb7d
	v_add_f64 v[141:142], v[88:89], v[84:85]
	v_mul_f64 v[161:162], v[147:148], s[30:31]
	v_fma_f64 v[167:168], v[135:136], s[10:11], -v[102:103]
	v_add_f64 v[159:160], v[169:170], v[159:160]
	v_add_f64 v[98:99], v[98:99], v[100:101]
	v_fma_f64 v[100:101], v[105:106], s[8:9], v[94:95]
	v_add_f64 v[96:97], v[96:97], v[163:164]
	v_fma_f64 v[157:158], v[139:140], s[24:25], v[157:158]
	v_add_f64 v[155:156], v[155:156], v[171:172]
	v_mul_f64 v[169:170], v[151:152], s[26:27]
	v_fma_f64 v[92:93], v[107:108], s[10:11], -v[92:93]
	v_fma_f64 v[163:164], v[141:142], s[8:9], -v[161:162]
	v_add_f64 v[159:160], v[167:168], v[159:160]
	v_fma_f64 v[167:168], v[105:106], s[8:9], -v[94:95]
	v_add_f64 v[94:95], v[100:101], v[96:97]
	v_mul_f64 v[100:101], v[149:150], s[30:31]
	v_add_f64 v[155:156], v[157:158], v[155:156]
	v_fma_f64 v[157:158], v[119:120], s[24:25], v[169:170]
	v_fma_f64 v[169:170], v[119:120], s[24:25], -v[169:170]
	s_mov_b32 s35, 0xbfea55e2
	s_mov_b32 s34, s38
	v_add_f64 v[98:99], v[92:93], v[98:99]
	v_fma_f64 v[165:166], v[137:138], s[28:29], v[165:166]
	v_add_f64 v[92:93], v[163:164], v[159:160]
	v_fma_f64 v[96:97], v[141:142], s[8:9], v[161:162]
	v_mul_f64 v[159:160], v[131:132], s[26:27]
	v_mul_f64 v[161:162], v[123:124], s[34:35]
	v_fma_f64 v[163:164], v[115:116], s[8:9], v[100:101]
	v_add_f64 v[157:158], v[50:51], v[157:158]
	v_fma_f64 v[100:101], v[115:116], s[8:9], -v[100:101]
	v_add_f64 v[169:170], v[50:51], v[169:170]
	s_mov_b32 s43, 0x3fcea1e5
	s_mov_b32 s42, s18
	v_add_f64 v[98:99], v[167:168], v[98:99]
	v_add_f64 v[155:156], v[165:166], v[155:156]
	v_mul_f64 v[165:166], v[129:130], s[30:31]
	v_fma_f64 v[167:168], v[127:128], s[24:25], -v[159:160]
	v_mul_f64 v[171:172], v[113:114], s[42:43]
	v_fma_f64 v[173:174], v[117:118], s[28:29], v[161:162]
	v_add_f64 v[157:158], v[163:164], v[157:158]
	v_fma_f64 v[161:162], v[117:118], s[28:29], -v[161:162]
	v_add_f64 v[100:101], v[100:101], v[169:170]
	v_mul_f64 v[163:164], v[111:112], s[20:21]
	v_mul_f64 v[175:176], v[133:134], s[34:35]
	v_fma_f64 v[177:178], v[125:126], s[8:9], -v[165:166]
	v_add_f64 v[167:168], v[48:49], v[167:168]
	v_fma_f64 v[179:180], v[121:122], s[16:17], v[171:172]
	v_add_f64 v[157:158], v[173:174], v[157:158]
	v_fma_f64 v[171:172], v[121:122], s[16:17], -v[171:172]
	v_add_f64 v[100:101], v[161:162], v[100:101]
	v_fma_f64 v[159:160], v[127:128], s[24:25], v[159:160]
	v_fma_f64 v[102:103], v[135:136], s[10:11], v[102:103]
	v_mul_f64 v[173:174], v[109:110], s[14:15]
	v_mul_f64 v[181:182], v[143:144], s[42:43]
	v_fma_f64 v[183:184], v[139:140], s[28:29], -v[175:176]
	v_add_f64 v[167:168], v[177:178], v[167:168]
	v_fma_f64 v[177:178], v[107:108], s[22:23], v[163:164]
	v_add_f64 v[157:158], v[179:180], v[157:158]
	v_fma_f64 v[163:164], v[107:108], s[22:23], -v[163:164]
	v_add_f64 v[100:101], v[171:172], v[100:101]
	v_fma_f64 v[165:166], v[125:126], s[8:9], v[165:166]
	v_add_f64 v[159:160], v[48:49], v[159:160]
	v_add_f64 v[102:103], v[102:103], v[155:156]
	v_mul_f64 v[155:156], v[145:146], s[20:21]
	v_fma_f64 v[169:170], v[137:138], s[16:17], -v[181:182]
	v_add_f64 v[167:168], v[183:184], v[167:168]
	v_fma_f64 v[179:180], v[105:106], s[10:11], v[173:174]
	v_add_f64 v[157:158], v[177:178], v[157:158]
	v_mul_f64 v[171:172], v[151:152], s[14:15]
	v_add_f64 v[163:164], v[163:164], v[100:101]
	v_fma_f64 v[100:101], v[139:140], s[28:29], v[175:176]
	v_add_f64 v[159:160], v[165:166], v[159:160]
	v_mul_f64 v[165:166], v[131:132], s[14:15]
	s_mov_b32 s41, 0x3fe5384d
	s_mov_b32 s40, s26
	v_fma_f64 v[177:178], v[135:136], s[22:23], -v[155:156]
	v_add_f64 v[167:168], v[169:170], v[167:168]
	v_add_f64 v[96:97], v[96:97], v[102:103]
	;; [unrolled: 1-line block ×3, first 2 shown]
	v_fma_f64 v[169:170], v[105:106], s[10:11], -v[173:174]
	v_mul_f64 v[173:174], v[149:150], s[40:41]
	v_fma_f64 v[175:176], v[119:120], s[10:11], v[171:172]
	v_add_f64 v[100:101], v[100:101], v[159:160]
	v_mul_f64 v[179:180], v[129:130], s[40:41]
	v_fma_f64 v[159:160], v[127:128], s[10:11], -v[165:166]
	v_fma_f64 v[171:172], v[119:120], s[10:11], -v[171:172]
	v_add_f64 v[167:168], v[177:178], v[167:168]
	v_fma_f64 v[177:178], v[137:138], s[16:17], v[181:182]
	v_mul_f64 v[181:182], v[123:124], s[20:21]
	v_fma_f64 v[183:184], v[115:116], s[24:25], v[173:174]
	v_add_f64 v[175:176], v[50:51], v[175:176]
	v_mul_f64 v[185:186], v[133:134], s[20:21]
	v_fma_f64 v[187:188], v[125:126], s[24:25], -v[179:180]
	v_add_f64 v[159:160], v[48:49], v[159:160]
	v_fma_f64 v[173:174], v[115:116], s[24:25], -v[173:174]
	v_add_f64 v[171:172], v[50:51], v[171:172]
	s_mov_b32 s37, 0xbfefc445
	s_mov_b32 s36, s30
	v_mul_f64 v[161:162], v[147:148], s[14:15]
	v_mul_f64 v[189:190], v[113:114], s[36:37]
	v_fma_f64 v[191:192], v[117:118], s[22:23], v[181:182]
	v_add_f64 v[175:176], v[183:184], v[175:176]
	v_add_f64 v[100:101], v[177:178], v[100:101]
	v_mul_f64 v[177:178], v[143:144], s[36:37]
	v_fma_f64 v[183:184], v[139:140], s[22:23], -v[185:186]
	v_add_f64 v[159:160], v[187:188], v[159:160]
	v_fma_f64 v[181:182], v[117:118], s[22:23], -v[181:182]
	v_add_f64 v[171:172], v[173:174], v[171:172]
	v_fma_f64 v[157:158], v[141:142], s[10:11], -v[161:162]
	v_fma_f64 v[155:156], v[135:136], s[22:23], v[155:156]
	v_mul_f64 v[187:188], v[111:112], s[42:43]
	v_fma_f64 v[193:194], v[121:122], s[8:9], v[189:190]
	v_add_f64 v[175:176], v[191:192], v[175:176]
	v_mul_f64 v[191:192], v[145:146], s[42:43]
	v_fma_f64 v[195:196], v[137:138], s[8:9], -v[177:178]
	v_add_f64 v[159:160], v[183:184], v[159:160]
	v_fma_f64 v[189:190], v[121:122], s[8:9], -v[189:190]
	v_add_f64 v[171:172], v[181:182], v[171:172]
	v_mul_f64 v[183:184], v[109:110], s[38:39]
	v_fma_f64 v[197:198], v[107:108], s[16:17], v[187:188]
	v_add_f64 v[175:176], v[193:194], v[175:176]
	v_mul_f64 v[173:174], v[147:148], s[38:39]
	v_fma_f64 v[193:194], v[135:136], s[16:17], -v[191:192]
	v_add_f64 v[159:160], v[195:196], v[159:160]
	v_add_f64 v[155:156], v[155:156], v[100:101]
	;; [unrolled: 1-line block ×4, first 2 shown]
	v_fma_f64 v[163:164], v[127:128], s[10:11], v[165:166]
	v_fma_f64 v[165:166], v[107:108], s[16:17], -v[187:188]
	v_add_f64 v[167:168], v[189:190], v[171:172]
	v_fma_f64 v[161:162], v[141:142], s[10:11], v[161:162]
	v_fma_f64 v[195:196], v[105:106], s[28:29], v[183:184]
	v_add_f64 v[175:176], v[197:198], v[175:176]
	v_fma_f64 v[181:182], v[141:142], s[28:29], -v[173:174]
	v_add_f64 v[159:160], v[193:194], v[159:160]
	v_fma_f64 v[169:170], v[125:126], s[24:25], v[179:180]
	v_mul_f64 v[171:172], v[151:152], s[36:37]
	v_add_f64 v[163:164], v[48:49], v[163:164]
	v_add_f64 v[165:166], v[165:166], v[167:168]
	v_fma_f64 v[167:168], v[137:138], s[8:9], v[177:178]
	v_mul_f64 v[177:178], v[131:132], s[36:37]
	v_add_f64 v[155:156], v[161:162], v[155:156]
	v_add_f64 v[161:162], v[195:196], v[175:176]
	v_add_f64 v[159:160], v[181:182], v[159:160]
	v_fma_f64 v[175:176], v[105:106], s[28:29], -v[183:184]
	v_fma_f64 v[179:180], v[139:140], s[22:23], v[185:186]
	v_mul_f64 v[181:182], v[149:150], s[18:19]
	v_fma_f64 v[183:184], v[119:120], s[8:9], v[171:172]
	v_add_f64 v[163:164], v[169:170], v[163:164]
	v_mul_f64 v[185:186], v[129:130], s[18:19]
	v_fma_f64 v[169:170], v[127:128], s[8:9], -v[177:178]
	s_mov_b32 s39, 0x3fedeba7
	s_mov_b32 s38, s14
	v_mul_f64 v[187:188], v[123:124], s[38:39]
	v_fma_f64 v[189:190], v[115:116], s[16:17], v[181:182]
	v_add_f64 v[183:184], v[50:51], v[183:184]
	v_add_f64 v[163:164], v[179:180], v[163:164]
	v_fma_f64 v[179:180], v[135:136], s[16:17], v[191:192]
	v_mul_f64 v[191:192], v[133:134], s[38:39]
	v_fma_f64 v[193:194], v[125:126], s[16:17], -v[185:186]
	v_add_f64 v[169:170], v[48:49], v[169:170]
	v_mul_f64 v[195:196], v[113:114], s[20:21]
	v_fma_f64 v[197:198], v[117:118], s[10:11], v[187:188]
	v_add_f64 v[183:184], v[189:190], v[183:184]
	v_add_f64 v[163:164], v[167:168], v[163:164]
	v_mul_f64 v[189:190], v[143:144], s[20:21]
	v_fma_f64 v[167:168], v[139:140], s[10:11], -v[191:192]
	v_fma_f64 v[171:172], v[119:120], s[8:9], -v[171:172]
	v_add_f64 v[169:170], v[193:194], v[169:170]
	v_mul_f64 v[193:194], v[111:112], s[34:35]
	v_fma_f64 v[199:200], v[121:122], s[22:23], v[195:196]
	v_add_f64 v[183:184], v[197:198], v[183:184]
	v_mul_f64 v[197:198], v[145:146], s[34:35]
	v_fma_f64 v[201:202], v[137:138], s[22:23], -v[189:190]
	v_fma_f64 v[181:182], v[115:116], s[16:17], -v[181:182]
	v_add_f64 v[171:172], v[50:51], v[171:172]
	v_add_f64 v[167:168], v[167:168], v[169:170]
	v_mul_f64 v[203:204], v[109:110], s[26:27]
	v_fma_f64 v[169:170], v[107:108], s[28:29], v[193:194]
	v_add_f64 v[183:184], v[199:200], v[183:184]
	v_mul_f64 v[199:200], v[147:148], s[26:27]
	v_fma_f64 v[209:210], v[135:136], s[28:29], -v[197:198]
	v_fma_f64 v[187:188], v[117:118], s[10:11], -v[187:188]
	v_add_f64 v[171:172], v[181:182], v[171:172]
	v_add_f64 v[167:168], v[201:202], v[167:168]
	v_fma_f64 v[173:174], v[141:142], s[28:29], v[173:174]
	v_add_f64 v[163:164], v[179:180], v[163:164]
	v_fma_f64 v[179:180], v[105:106], s[24:25], v[203:204]
	v_add_f64 v[169:170], v[169:170], v[183:184]
	v_fma_f64 v[181:182], v[141:142], s[24:25], -v[199:200]
	v_fma_f64 v[183:184], v[121:122], s[22:23], -v[195:196]
	v_add_f64 v[171:172], v[187:188], v[171:172]
	v_add_f64 v[167:168], v[209:210], v[167:168]
	;; [unrolled: 1-line block ×4, first 2 shown]
	v_fma_f64 v[173:174], v[127:128], s[8:9], v[177:178]
	v_mul_f64 v[177:178], v[151:152], s[34:35]
	v_add_f64 v[169:170], v[179:180], v[169:170]
	v_fma_f64 v[175:176], v[107:108], s[28:29], -v[193:194]
	v_add_f64 v[171:172], v[183:184], v[171:172]
	v_add_f64 v[167:168], v[181:182], v[167:168]
	v_fma_f64 v[179:180], v[125:126], s[16:17], v[185:186]
	v_mul_f64 v[181:182], v[131:132], s[34:35]
	v_add_f64 v[173:174], v[48:49], v[173:174]
	v_mul_f64 v[185:186], v[149:150], s[14:15]
	v_fma_f64 v[187:188], v[119:120], s[28:29], v[177:178]
	v_add_f64 v[54:55], v[50:51], v[54:55]
	v_add_f64 v[171:172], v[175:176], v[171:172]
	v_fma_f64 v[175:176], v[139:140], s[10:11], v[191:192]
	v_mul_f64 v[191:192], v[129:130], s[14:15]
	v_fma_f64 v[193:194], v[127:128], s[28:29], -v[181:182]
	v_add_f64 v[173:174], v[179:180], v[173:174]
	v_mul_f64 v[179:180], v[123:124], s[18:19]
	v_fma_f64 v[195:196], v[115:116], s[10:11], v[185:186]
	v_add_f64 v[187:188], v[50:51], v[187:188]
	v_add_f64 v[52:53], v[48:49], v[52:53]
	v_fma_f64 v[183:184], v[105:106], s[24:25], -v[203:204]
	v_mul_f64 v[201:202], v[133:134], s[18:19]
	v_fma_f64 v[203:204], v[125:126], s[10:11], -v[191:192]
	v_add_f64 v[193:194], v[48:49], v[193:194]
	v_add_f64 v[173:174], v[175:176], v[173:174]
	v_mul_f64 v[175:176], v[113:114], s[40:41]
	v_fma_f64 v[209:210], v[117:118], s[16:17], v[179:180]
	v_add_f64 v[187:188], v[195:196], v[187:188]
	v_add_f64 v[54:55], v[54:55], v[58:59]
	;; [unrolled: 1-line block ×3, first 2 shown]
	v_fma_f64 v[211:212], v[139:140], s[16:17], -v[201:202]
	v_add_f64 v[193:194], v[203:204], v[193:194]
	v_fma_f64 v[177:178], v[119:120], s[28:29], -v[177:178]
	v_fma_f64 v[203:204], v[121:122], s[24:25], v[175:176]
	v_fma_f64 v[185:186], v[115:116], s[10:11], -v[185:186]
	v_add_f64 v[187:188], v[209:210], v[187:188]
	v_add_f64 v[54:55], v[54:55], v[70:71]
	;; [unrolled: 1-line block ×3, first 2 shown]
	v_fma_f64 v[181:182], v[127:128], s[28:29], v[181:182]
	v_add_f64 v[193:194], v[211:212], v[193:194]
	v_mul_f64 v[211:212], v[109:110], s[20:21]
	v_add_f64 v[177:178], v[50:51], v[177:178]
	v_fma_f64 v[179:180], v[117:118], s[16:17], -v[179:180]
	v_add_f64 v[187:188], v[203:204], v[187:188]
	v_mul_f64 v[203:204], v[147:148], s[20:21]
	s_mov_b32 s21, 0xbfddbe06
	v_add_f64 v[54:55], v[54:55], v[78:79]
	v_add_f64 v[76:77], v[52:53], v[76:77]
	v_mul_f64 v[151:152], v[151:152], s[20:21]
	v_add_f64 v[177:178], v[185:186], v[177:178]
	v_fma_f64 v[185:186], v[125:126], s[10:11], v[191:192]
	v_add_f64 v[181:182], v[48:49], v[181:182]
	v_mul_f64 v[149:150], v[149:150], s[34:35]
	v_fma_f64 v[195:196], v[135:136], s[28:29], v[197:198]
	v_add_f64 v[54:55], v[54:55], v[82:83]
	v_add_f64 v[76:77], v[76:77], v[80:81]
	v_fma_f64 v[191:192], v[119:120], s[22:23], v[151:152]
	v_mul_f64 v[80:81], v[131:132], s[20:21]
	v_mul_f64 v[197:198], v[143:144], s[40:41]
	v_fma_f64 v[175:176], v[121:122], s[24:25], -v[175:176]
	v_add_f64 v[177:178], v[179:180], v[177:178]
	v_fma_f64 v[179:180], v[139:140], s[16:17], v[201:202]
	v_add_f64 v[54:55], v[54:55], v[90:91]
	v_add_f64 v[76:77], v[76:77], v[88:89]
	;; [unrolled: 1-line block ×3, first 2 shown]
	v_mul_f64 v[123:124], v[123:124], s[36:37]
	v_fma_f64 v[185:186], v[115:116], s[28:29], v[149:150]
	v_add_f64 v[191:192], v[50:51], v[191:192]
	v_fma_f64 v[119:120], v[119:120], s[22:23], -v[151:152]
	v_mul_f64 v[129:130], v[129:130], s[34:35]
	v_fma_f64 v[88:89], v[127:128], s[22:23], v[80:81]
	v_fma_f64 v[80:81], v[127:128], s[22:23], -v[80:81]
	v_add_f64 v[54:55], v[54:55], v[86:87]
	v_add_f64 v[76:77], v[76:77], v[84:85]
	v_fma_f64 v[189:190], v[137:138], s[22:23], v[189:190]
	v_mul_f64 v[209:210], v[145:146], s[30:31]
	v_add_f64 v[56:57], v[175:176], v[177:178]
	v_fma_f64 v[58:59], v[137:138], s[24:25], v[197:198]
	v_add_f64 v[175:176], v[179:180], v[181:182]
	v_mul_f64 v[113:114], v[113:114], s[14:15]
	v_fma_f64 v[177:178], v[117:118], s[8:9], v[123:124]
	v_add_f64 v[179:180], v[185:186], v[191:192]
	v_mul_f64 v[90:91], v[133:134], s[36:37]
	v_fma_f64 v[115:116], v[115:116], s[28:29], -v[149:150]
	v_add_f64 v[50:51], v[50:51], v[119:120]
	v_fma_f64 v[119:120], v[125:126], s[28:29], v[129:130]
	v_add_f64 v[84:85], v[48:49], v[88:89]
	v_fma_f64 v[86:87], v[125:126], s[28:29], -v[129:130]
	v_add_f64 v[48:49], v[48:49], v[80:81]
	v_add_f64 v[54:55], v[54:55], v[74:75]
	;; [unrolled: 1-line block ×4, first 2 shown]
	v_mul_f64 v[189:190], v[111:112], s[30:31]
	v_fma_f64 v[68:69], v[135:136], s[8:9], v[209:210]
	v_add_f64 v[58:59], v[58:59], v[175:176]
	v_mul_f64 v[70:71], v[111:112], s[26:27]
	v_fma_f64 v[111:112], v[121:122], s[10:11], v[113:114]
	v_add_f64 v[175:176], v[177:178], v[179:180]
	v_mul_f64 v[131:132], v[143:144], s[14:15]
	v_fma_f64 v[80:81], v[117:118], s[8:9], -v[123:124]
	v_add_f64 v[50:51], v[115:116], v[50:51]
	v_fma_f64 v[88:89], v[139:140], s[8:9], v[90:91]
	v_add_f64 v[74:75], v[119:120], v[84:85]
	v_fma_f64 v[76:77], v[139:140], s[8:9], -v[90:91]
	v_add_f64 v[48:49], v[86:87], v[48:49]
	v_add_f64 v[54:55], v[54:55], v[66:67]
	;; [unrolled: 1-line block ×4, first 2 shown]
	v_mul_f64 v[68:69], v[109:110], s[18:19]
	v_add_f64 v[109:110], v[111:112], v[175:176]
	v_mul_f64 v[111:112], v[145:146], s[26:27]
	v_fma_f64 v[84:85], v[121:122], s[10:11], -v[113:114]
	v_add_f64 v[50:51], v[80:81], v[50:51]
	v_fma_f64 v[80:81], v[137:138], s[10:11], v[131:132]
	v_add_f64 v[66:67], v[88:89], v[74:75]
	v_fma_f64 v[199:200], v[141:142], s[24:25], v[199:200]
	v_add_f64 v[195:196], v[195:196], v[173:174]
	v_fma_f64 v[215:216], v[107:108], s[8:9], v[189:190]
	v_fma_f64 v[189:190], v[107:108], s[8:9], -v[189:190]
	v_fma_f64 v[72:73], v[137:138], s[10:11], -v[131:132]
	v_add_f64 v[48:49], v[76:77], v[48:49]
	v_fma_f64 v[213:214], v[137:138], s[24:25], -v[197:198]
	v_add_f64 v[54:55], v[54:55], v[62:63]
	v_add_f64 v[60:61], v[64:65], v[60:61]
	v_fma_f64 v[78:79], v[107:108], s[24:25], v[70:71]
	v_mul_f64 v[82:83], v[147:148], s[18:19]
	v_fma_f64 v[70:71], v[107:108], s[24:25], -v[70:71]
	v_add_f64 v[50:51], v[84:85], v[50:51]
	v_fma_f64 v[74:75], v[135:136], s[24:25], v[111:112]
	v_add_f64 v[62:63], v[80:81], v[66:67]
	v_add_f64 v[173:174], v[183:184], v[171:172]
	;; [unrolled: 1-line block ×3, first 2 shown]
	v_fma_f64 v[199:200], v[105:106], s[22:23], -v[211:212]
	v_add_f64 v[56:57], v[189:190], v[56:57]
	v_fma_f64 v[64:65], v[135:136], s[24:25], -v[111:112]
	v_add_f64 v[48:49], v[72:73], v[48:49]
	;; [unrolled: 2-line block ×3, first 2 shown]
	v_add_f64 v[54:55], v[54:55], v[2:3]
	v_add_f64 v[0:1], v[60:61], v[0:1]
	v_fma_f64 v[66:67], v[105:106], s[16:17], -v[68:69]
	v_add_f64 v[50:51], v[70:71], v[50:51]
	v_fma_f64 v[70:71], v[141:142], s[16:17], v[82:83]
	v_add_f64 v[60:61], v[74:75], v[62:63]
	v_add_f64 v[52:53], v[199:200], v[56:57]
	v_fma_f64 v[56:57], v[141:142], s[22:23], v[203:204]
	v_fma_f64 v[72:73], v[141:142], s[16:17], -v[82:83]
	v_add_f64 v[48:49], v[64:65], v[48:49]
	v_fma_f64 v[183:184], v[105:106], s[22:23], v[211:212]
	v_add_f64 v[187:188], v[215:216], v[187:188]
	v_fma_f64 v[195:196], v[141:142], s[22:23], -v[203:204]
	v_add_f64 v[193:194], v[217:218], v[193:194]
	v_fma_f64 v[62:63], v[105:106], s[16:17], v[68:69]
	v_add_f64 v[68:69], v[78:79], v[109:110]
	v_add_f64 v[6:7], v[54:55], v[6:7]
	;; [unrolled: 1-line block ×7, first 2 shown]
	v_lshl_add_u32 v48, v208, 4, v207
	v_add_f64 v[56:57], v[183:184], v[187:188]
	v_add_f64 v[54:55], v[195:196], v[193:194]
	;; [unrolled: 1-line block ×3, first 2 shown]
	ds_write_b128 v48, v[4:7]
	ds_write_b128 v48, v[0:3] offset:16
	ds_write_b128 v48, v[50:53] offset:32
	;; [unrolled: 1-line block ×12, first 2 shown]
.LBB0_13:
	s_or_b64 exec, exec, s[4:5]
	s_waitcnt lgkmcnt(0)
	s_barrier
	ds_read_b128 v[0:3], v154 offset:208
	ds_read_b128 v[4:7], v154 offset:416
	s_mov_b32 s14, 0xf8bb580b
	s_mov_b32 s4, 0x8eee2c13
	;; [unrolled: 1-line block ×3, first 2 shown]
	s_waitcnt lgkmcnt(1)
	v_mul_f64 v[50:51], v[46:47], v[2:3]
	v_mul_f64 v[52:53], v[46:47], v[0:1]
	ds_read_b128 v[46:49], v154 offset:624
	s_mov_b32 s26, 0xbb3a28a1
	s_mov_b32 s34, 0xfd768dbf
	s_mov_b32 s15, 0xbfe14ced
	s_mov_b32 s5, 0xbfed1bb4
	s_mov_b32 s19, 0xbfefac9e
	v_fma_f64 v[56:57], v[44:45], v[0:1], v[50:51]
	v_fma_f64 v[58:59], v[44:45], v[2:3], -v[52:53]
	ds_read_b128 v[0:3], v154 offset:832
	ds_read_b128 v[50:53], v154
	s_waitcnt lgkmcnt(3)
	v_mul_f64 v[54:55], v[38:39], v[6:7]
	v_mul_f64 v[38:39], v[38:39], v[4:5]
	s_waitcnt lgkmcnt(2)
	v_mul_f64 v[44:45], v[22:23], v[48:49]
	v_mul_f64 v[22:23], v[22:23], v[46:47]
	;; [unrolled: 3-line block ×3, first 2 shown]
	s_mov_b32 s27, 0xbfe82f19
	s_mov_b32 s35, 0xbfd207e7
	v_fma_f64 v[54:55], v[36:37], v[4:5], v[54:55]
	v_fma_f64 v[60:61], v[36:37], v[6:7], -v[38:39]
	s_waitcnt lgkmcnt(0)
	v_add_f64 v[36:37], v[50:51], v[56:57]
	v_add_f64 v[38:39], v[52:53], v[58:59]
	v_fma_f64 v[46:47], v[20:21], v[46:47], v[44:45]
	v_fma_f64 v[48:49], v[20:21], v[48:49], -v[22:23]
	ds_read_b128 v[4:7], v154 offset:1040
	v_fma_f64 v[62:63], v[12:13], v[0:1], v[62:63]
	v_fma_f64 v[70:71], v[12:13], v[2:3], -v[14:15]
	s_mov_b32 s10, 0x8764f0ba
	v_add_f64 v[44:45], v[36:37], v[54:55]
	v_add_f64 v[64:65], v[38:39], v[60:61]
	s_waitcnt lgkmcnt(0)
	v_mul_f64 v[66:67], v[42:43], v[6:7]
	v_mul_f64 v[68:69], v[42:43], v[4:5]
	ds_read_b128 v[20:23], v154 offset:1248
	ds_read_b128 v[36:39], v154 offset:1456
	s_mov_b32 s8, 0xd9c712b6
	s_mov_b32 s22, 0x640f44db
	;; [unrolled: 1-line block ×3, first 2 shown]
	v_add_f64 v[72:73], v[44:45], v[46:47]
	v_add_f64 v[64:65], v[64:65], v[48:49]
	s_waitcnt lgkmcnt(1)
	v_mul_f64 v[74:75], v[26:27], v[22:23]
	v_mul_f64 v[26:27], v[26:27], v[20:21]
	v_fma_f64 v[4:5], v[40:41], v[4:5], v[66:67]
	v_fma_f64 v[6:7], v[40:41], v[6:7], -v[68:69]
	ds_read_b128 v[0:3], v154 offset:1664
	ds_read_b128 v[12:15], v154 offset:1872
	;; [unrolled: 1-line block ×3, first 2 shown]
	s_waitcnt lgkmcnt(3)
	v_mul_f64 v[66:67], v[18:19], v[38:39]
	v_add_f64 v[40:41], v[72:73], v[62:63]
	v_add_f64 v[64:65], v[64:65], v[70:71]
	v_mul_f64 v[18:19], v[18:19], v[36:37]
	v_fma_f64 v[20:21], v[24:25], v[20:21], v[74:75]
	v_fma_f64 v[22:23], v[24:25], v[22:23], -v[26:27]
	s_mov_b32 s36, 0x9bcd5057
	s_mov_b32 s11, 0x3feaeb8c
	v_fma_f64 v[36:37], v[16:17], v[36:37], v[66:67]
	v_add_f64 v[24:25], v[40:41], v[4:5]
	v_add_f64 v[26:27], v[64:65], v[6:7]
	s_waitcnt lgkmcnt(0)
	v_mul_f64 v[40:41], v[34:35], v[42:43]
	v_mul_f64 v[64:65], v[10:11], v[2:3]
	;; [unrolled: 1-line block ×3, first 2 shown]
	v_fma_f64 v[16:17], v[16:17], v[38:39], -v[18:19]
	v_mul_f64 v[38:39], v[30:31], v[14:15]
	v_mul_f64 v[30:31], v[30:31], v[12:13]
	v_add_f64 v[18:19], v[24:25], v[20:21]
	v_add_f64 v[24:25], v[26:27], v[22:23]
	v_mul_f64 v[26:27], v[34:35], v[44:45]
	v_fma_f64 v[34:35], v[32:33], v[44:45], -v[40:41]
	v_fma_f64 v[40:41], v[8:9], v[0:1], v[64:65]
	v_fma_f64 v[8:9], v[8:9], v[2:3], -v[10:11]
	v_fma_f64 v[12:13], v[28:29], v[12:13], v[38:39]
	v_fma_f64 v[14:15], v[28:29], v[14:15], -v[30:31]
	v_add_f64 v[0:1], v[18:19], v[36:37]
	v_add_f64 v[2:3], v[24:25], v[16:17]
	v_fma_f64 v[10:11], v[32:33], v[42:43], v[26:27]
	v_add_f64 v[18:19], v[58:59], -v[34:35]
	v_add_f64 v[24:25], v[58:59], v[34:35]
	s_mov_b32 s9, 0x3fda9628
	s_mov_b32 s23, 0xbfc2375f
	v_add_f64 v[80:81], v[60:61], -v[14:15]
	v_add_f64 v[0:1], v[0:1], v[40:41]
	v_add_f64 v[2:3], v[2:3], v[8:9]
	;; [unrolled: 1-line block ×3, first 2 shown]
	v_mul_f64 v[28:29], v[18:19], s[14:15]
	v_mul_f64 v[42:43], v[18:19], s[4:5]
	;; [unrolled: 1-line block ×5, first 2 shown]
	s_mov_b32 s29, 0xbfe4f49e
	s_mov_b32 s37, 0xbfeeb42a
	v_add_f64 v[30:31], v[56:57], -v[10:11]
	v_mul_f64 v[32:33], v[24:25], s[10:11]
	v_add_f64 v[0:1], v[0:1], v[12:13]
	v_add_f64 v[2:3], v[2:3], v[14:15]
	v_fma_f64 v[38:39], v[26:27], s[10:11], v[28:29]
	v_mul_f64 v[44:45], v[24:25], s[8:9]
	v_mul_f64 v[66:67], v[24:25], s[22:23]
	;; [unrolled: 1-line block ×4, first 2 shown]
	v_add_f64 v[14:15], v[60:61], v[14:15]
	v_fma_f64 v[60:61], v[26:27], s[36:37], v[18:19]
	v_add_f64 v[84:85], v[54:55], v[12:13]
	v_add_f64 v[12:13], v[54:55], -v[12:13]
	v_mul_f64 v[54:55], v[80:81], s[4:5]
	s_mov_b32 s21, 0x3fe14ced
	s_mov_b32 s20, s14
	;; [unrolled: 1-line block ×10, first 2 shown]
	v_fma_f64 v[56:57], v[30:31], s[20:21], v[32:33]
	v_add_f64 v[0:1], v[0:1], v[10:11]
	v_add_f64 v[2:3], v[2:3], v[34:35]
	v_fma_f64 v[10:11], v[26:27], s[10:11], -v[28:29]
	v_add_f64 v[28:29], v[50:51], v[38:39]
	v_fma_f64 v[32:33], v[30:31], s[14:15], v[32:33]
	v_fma_f64 v[34:35], v[26:27], s[8:9], v[42:43]
	v_fma_f64 v[38:39], v[30:31], s[16:17], v[44:45]
	v_fma_f64 v[42:43], v[26:27], s[8:9], -v[42:43]
	v_fma_f64 v[44:45], v[30:31], s[4:5], v[44:45]
	v_fma_f64 v[64:65], v[26:27], s[22:23], v[58:59]
	v_fma_f64 v[74:75], v[30:31], s[24:25], v[66:67]
	v_fma_f64 v[58:59], v[26:27], s[22:23], -v[58:59]
	;; [unrolled: 4-line block ×3, first 2 shown]
	v_fma_f64 v[72:73], v[30:31], s[26:27], v[72:73]
	v_fma_f64 v[82:83], v[30:31], s[38:39], v[24:25]
	v_mul_f64 v[86:87], v[14:15], s[8:9]
	v_fma_f64 v[18:19], v[26:27], s[36:37], -v[18:19]
	v_fma_f64 v[24:25], v[30:31], s[34:35], v[24:25]
	v_add_f64 v[26:27], v[50:51], v[60:61]
	v_mul_f64 v[60:61], v[80:81], s[26:27]
	v_fma_f64 v[88:89], v[84:85], s[8:9], v[54:55]
	v_add_f64 v[56:57], v[52:53], v[56:57]
	v_add_f64 v[10:11], v[50:51], v[10:11]
	;; [unrolled: 1-line block ×16, first 2 shown]
	v_mul_f64 v[82:83], v[14:15], s[28:29]
	v_fma_f64 v[90:91], v[12:13], s[16:17], v[86:87]
	v_add_f64 v[18:19], v[50:51], v[18:19]
	v_add_f64 v[24:25], v[52:53], v[24:25]
	v_fma_f64 v[50:51], v[84:85], s[8:9], -v[54:55]
	v_fma_f64 v[52:53], v[12:13], s[4:5], v[86:87]
	v_fma_f64 v[54:55], v[84:85], s[28:29], v[60:61]
	v_add_f64 v[28:29], v[88:89], v[28:29]
	v_mul_f64 v[88:89], v[80:81], s[38:39]
	v_fma_f64 v[86:87], v[12:13], s[30:31], v[82:83]
	v_add_f64 v[56:57], v[90:91], v[56:57]
	v_mul_f64 v[90:91], v[14:15], s[36:37]
	v_add_f64 v[10:11], v[50:51], v[10:11]
	v_add_f64 v[32:33], v[52:53], v[32:33]
	;; [unrolled: 1-line block ×3, first 2 shown]
	v_fma_f64 v[50:51], v[84:85], s[28:29], -v[60:61]
	v_fma_f64 v[52:53], v[12:13], s[26:27], v[82:83]
	v_fma_f64 v[54:55], v[84:85], s[36:37], v[88:89]
	v_mul_f64 v[82:83], v[80:81], s[24:25]
	v_add_f64 v[38:39], v[86:87], v[38:39]
	v_fma_f64 v[60:61], v[12:13], s[34:35], v[90:91]
	v_mul_f64 v[86:87], v[14:15], s[22:23]
	v_fma_f64 v[90:91], v[12:13], s[38:39], v[90:91]
	v_add_f64 v[42:43], v[50:51], v[42:43]
	v_add_f64 v[44:45], v[52:53], v[44:45]
	;; [unrolled: 1-line block ×3, first 2 shown]
	v_fma_f64 v[54:55], v[84:85], s[22:23], v[82:83]
	v_mul_f64 v[80:81], v[80:81], s[20:21]
	v_add_f64 v[52:53], v[60:61], v[74:75]
	v_fma_f64 v[74:75], v[12:13], s[24:25], v[86:87]
	v_add_f64 v[64:65], v[90:91], v[66:67]
	v_fma_f64 v[66:67], v[84:85], s[22:23], -v[82:83]
	v_mul_f64 v[14:15], v[14:15], s[10:11]
	v_fma_f64 v[60:61], v[12:13], s[18:19], v[86:87]
	v_add_f64 v[54:55], v[54:55], v[76:77]
	v_add_f64 v[76:77], v[48:49], -v[8:9]
	v_add_f64 v[8:9], v[48:49], v[8:9]
	v_fma_f64 v[88:89], v[84:85], s[36:37], -v[88:89]
	v_add_f64 v[48:49], v[66:67], v[68:69]
	v_add_f64 v[66:67], v[74:75], v[72:73]
	v_fma_f64 v[68:69], v[84:85], s[10:11], v[80:81]
	v_fma_f64 v[72:73], v[12:13], s[14:15], v[14:15]
	v_add_f64 v[74:75], v[46:47], v[40:41]
	v_add_f64 v[40:41], v[46:47], -v[40:41]
	v_mul_f64 v[46:47], v[76:77], s[18:19]
	v_add_f64 v[60:61], v[60:61], v[78:79]
	v_mul_f64 v[78:79], v[8:9], s[22:23]
	v_fma_f64 v[12:13], v[12:13], s[20:21], v[14:15]
	v_add_f64 v[14:15], v[68:69], v[26:27]
	v_add_f64 v[26:27], v[72:73], v[30:31]
	v_mul_f64 v[30:31], v[76:77], s[38:39]
	v_fma_f64 v[80:81], v[84:85], s[10:11], -v[80:81]
	v_fma_f64 v[72:73], v[74:75], s[22:23], v[46:47]
	v_mul_f64 v[68:69], v[8:9], s[36:37]
	v_fma_f64 v[82:83], v[40:41], s[24:25], v[78:79]
	v_add_f64 v[12:13], v[12:13], v[24:25]
	v_fma_f64 v[24:25], v[74:75], s[22:23], -v[46:47]
	v_fma_f64 v[46:47], v[40:41], s[18:19], v[78:79]
	v_fma_f64 v[78:79], v[74:75], s[36:37], v[30:31]
	v_add_f64 v[18:19], v[80:81], v[18:19]
	v_add_f64 v[28:29], v[72:73], v[28:29]
	v_mul_f64 v[72:73], v[76:77], s[16:17]
	v_fma_f64 v[80:81], v[40:41], s[34:35], v[68:69]
	v_add_f64 v[56:57], v[82:83], v[56:57]
	v_mul_f64 v[82:83], v[8:9], s[8:9]
	v_add_f64 v[10:11], v[24:25], v[10:11]
	v_add_f64 v[24:25], v[46:47], v[32:33]
	;; [unrolled: 1-line block ×3, first 2 shown]
	v_fma_f64 v[30:31], v[74:75], s[36:37], -v[30:31]
	v_fma_f64 v[46:47], v[74:75], s[8:9], v[72:73]
	v_mul_f64 v[78:79], v[76:77], s[14:15]
	v_add_f64 v[34:35], v[80:81], v[38:39]
	v_fma_f64 v[38:39], v[40:41], s[38:39], v[68:69]
	v_fma_f64 v[68:69], v[40:41], s[4:5], v[82:83]
	v_add_f64 v[58:59], v[88:89], v[58:59]
	v_mul_f64 v[80:81], v[8:9], s[10:11]
	v_add_f64 v[30:31], v[30:31], v[42:43]
	v_add_f64 v[42:43], v[46:47], v[50:51]
	v_fma_f64 v[46:47], v[74:75], s[10:11], v[78:79]
	v_fma_f64 v[72:73], v[74:75], s[8:9], -v[72:73]
	v_fma_f64 v[82:83], v[40:41], s[16:17], v[82:83]
	v_add_f64 v[38:39], v[38:39], v[44:45]
	v_add_f64 v[44:45], v[68:69], v[52:53]
	v_mul_f64 v[8:9], v[8:9], s[28:29]
	v_fma_f64 v[68:69], v[74:75], s[10:11], -v[78:79]
	v_fma_f64 v[50:51], v[40:41], s[20:21], v[80:81]
	v_add_f64 v[46:47], v[46:47], v[54:55]
	v_add_f64 v[54:55], v[70:71], -v[16:17]
	v_add_f64 v[52:53], v[72:73], v[58:59]
	v_add_f64 v[58:59], v[82:83], v[64:65]
	v_mul_f64 v[64:65], v[76:77], s[26:27]
	v_fma_f64 v[72:73], v[40:41], s[14:15], v[80:81]
	v_add_f64 v[16:17], v[70:71], v[16:17]
	v_fma_f64 v[70:71], v[40:41], s[30:31], v[8:9]
	v_add_f64 v[48:49], v[68:69], v[48:49]
	v_add_f64 v[68:69], v[62:63], v[36:37]
	v_add_f64 v[36:37], v[62:63], -v[36:37]
	v_mul_f64 v[62:63], v[54:55], s[26:27]
	v_add_f64 v[50:51], v[50:51], v[60:61]
	v_fma_f64 v[60:61], v[74:75], s[28:29], v[64:65]
	v_add_f64 v[66:67], v[72:73], v[66:67]
	v_mul_f64 v[72:73], v[16:17], s[28:29]
	v_add_f64 v[26:27], v[70:71], v[26:27]
	v_fma_f64 v[8:9], v[40:41], s[26:27], v[8:9]
	v_mul_f64 v[40:41], v[54:55], s[24:25]
	v_fma_f64 v[70:71], v[68:69], s[28:29], v[62:63]
	v_fma_f64 v[62:63], v[68:69], s[28:29], -v[62:63]
	v_add_f64 v[14:15], v[60:61], v[14:15]
	v_fma_f64 v[60:61], v[74:75], s[28:29], -v[64:65]
	v_mul_f64 v[64:65], v[16:17], s[22:23]
	v_fma_f64 v[74:75], v[36:37], s[30:31], v[72:73]
	v_fma_f64 v[72:73], v[36:37], s[26:27], v[72:73]
	v_add_f64 v[8:9], v[8:9], v[12:13]
	v_add_f64 v[28:29], v[70:71], v[28:29]
	v_add_f64 v[10:11], v[62:63], v[10:11]
	v_mul_f64 v[62:63], v[54:55], s[14:15]
	v_mul_f64 v[70:71], v[16:17], s[10:11]
	v_add_f64 v[18:19], v[60:61], v[18:19]
	v_fma_f64 v[12:13], v[68:69], s[22:23], v[40:41]
	v_fma_f64 v[60:61], v[36:37], s[18:19], v[64:65]
	v_add_f64 v[56:57], v[74:75], v[56:57]
	v_add_f64 v[24:25], v[72:73], v[24:25]
	v_fma_f64 v[40:41], v[68:69], s[22:23], -v[40:41]
	v_fma_f64 v[72:73], v[68:69], s[10:11], v[62:63]
	v_fma_f64 v[74:75], v[36:37], s[20:21], v[70:71]
	v_fma_f64 v[62:63], v[68:69], s[10:11], -v[62:63]
	v_fma_f64 v[70:71], v[36:37], s[14:15], v[70:71]
	v_add_f64 v[12:13], v[12:13], v[32:33]
	v_add_f64 v[32:33], v[60:61], v[34:35]
	v_mul_f64 v[34:35], v[54:55], s[34:35]
	v_mul_f64 v[60:61], v[16:17], s[36:37]
	v_fma_f64 v[64:65], v[36:37], s[24:25], v[64:65]
	v_add_f64 v[30:31], v[40:41], v[30:31]
	v_add_f64 v[40:41], v[72:73], v[42:43]
	;; [unrolled: 1-line block ×5, first 2 shown]
	v_add_f64 v[58:59], v[6:7], -v[22:23]
	v_add_f64 v[22:23], v[6:7], v[22:23]
	v_mul_f64 v[6:7], v[54:55], s[16:17]
	v_mul_f64 v[16:17], v[16:17], s[8:9]
	v_fma_f64 v[76:77], v[68:69], s[36:37], v[34:35]
	v_fma_f64 v[78:79], v[36:37], s[38:39], v[60:61]
	v_add_f64 v[38:39], v[64:65], v[38:39]
	v_fma_f64 v[34:35], v[68:69], s[36:37], -v[34:35]
	v_fma_f64 v[54:55], v[36:37], s[34:35], v[60:61]
	v_add_f64 v[60:61], v[4:5], v[20:21]
	v_add_f64 v[62:63], v[4:5], -v[20:21]
	v_mul_f64 v[20:21], v[58:59], s[34:35]
	v_mul_f64 v[64:65], v[22:23], s[36:37]
	v_fma_f64 v[4:5], v[68:69], s[8:9], v[6:7]
	v_fma_f64 v[70:71], v[36:37], s[4:5], v[16:17]
	v_add_f64 v[34:35], v[34:35], v[48:49]
	v_add_f64 v[48:49], v[54:55], v[66:67]
	v_fma_f64 v[6:7], v[68:69], s[8:9], -v[6:7]
	v_fma_f64 v[16:17], v[36:37], s[16:17], v[16:17]
	v_fma_f64 v[36:37], v[60:61], s[36:37], v[20:21]
	;; [unrolled: 1-line block ×3, first 2 shown]
	v_add_f64 v[66:67], v[4:5], v[14:15]
	v_add_f64 v[68:69], v[70:71], v[26:27]
	v_mul_f64 v[14:15], v[58:59], s[20:21]
	v_mul_f64 v[26:27], v[22:23], s[10:11]
	v_add_f64 v[70:71], v[6:7], v[18:19]
	v_add_f64 v[72:73], v[16:17], v[8:9]
	;; [unrolled: 1-line block ×4, first 2 shown]
	v_fma_f64 v[8:9], v[60:61], s[36:37], -v[20:21]
	v_fma_f64 v[16:17], v[62:63], s[34:35], v[64:65]
	v_fma_f64 v[18:19], v[60:61], s[10:11], v[14:15]
	;; [unrolled: 1-line block ×3, first 2 shown]
	v_mul_f64 v[28:29], v[58:59], s[26:27]
	v_fma_f64 v[36:37], v[60:61], s[10:11], -v[14:15]
	v_fma_f64 v[26:27], v[62:63], s[20:21], v[26:27]
	v_mul_f64 v[54:55], v[22:23], s[28:29]
	v_add_f64 v[8:9], v[8:9], v[10:11]
	v_add_f64 v[10:11], v[16:17], v[24:25]
	v_add_f64 v[12:13], v[18:19], v[12:13]
	v_add_f64 v[14:15], v[20:21], v[32:33]
	v_fma_f64 v[20:21], v[60:61], s[28:29], v[28:29]
	v_add_f64 v[16:17], v[36:37], v[30:31]
	v_add_f64 v[18:19], v[26:27], v[38:39]
	v_fma_f64 v[24:25], v[62:63], s[30:31], v[54:55]
	v_fma_f64 v[26:27], v[60:61], s[28:29], -v[28:29]
	v_fma_f64 v[28:29], v[62:63], s[26:27], v[54:55]
	v_mul_f64 v[30:31], v[58:59], s[16:17]
	v_mul_f64 v[32:33], v[22:23], s[8:9]
	;; [unrolled: 1-line block ×4, first 2 shown]
	v_add_f64 v[46:47], v[76:77], v[46:47]
	v_add_f64 v[50:51], v[78:79], v[50:51]
	;; [unrolled: 1-line block ×6, first 2 shown]
	v_fma_f64 v[28:29], v[60:61], s[8:9], v[30:31]
	v_fma_f64 v[40:41], v[62:63], s[4:5], v[32:33]
	v_fma_f64 v[44:45], v[60:61], s[22:23], v[36:37]
	v_fma_f64 v[52:53], v[62:63], s[24:25], v[38:39]
	v_fma_f64 v[42:43], v[60:61], s[8:9], -v[30:31]
	v_fma_f64 v[54:55], v[60:61], s[22:23], -v[36:37]
	v_fma_f64 v[56:57], v[62:63], s[18:19], v[38:39]
	v_fma_f64 v[58:59], v[62:63], s[16:17], v[32:33]
	v_add_f64 v[28:29], v[28:29], v[46:47]
	v_add_f64 v[30:31], v[40:41], v[50:51]
	;; [unrolled: 1-line block ×8, first 2 shown]
	ds_write_b128 v153, v[0:3]
	ds_write_b128 v153, v[4:7] offset:208
	ds_write_b128 v153, v[12:15] offset:416
	;; [unrolled: 1-line block ×10, first 2 shown]
	s_waitcnt lgkmcnt(0)
	s_barrier
	s_and_b64 exec, exec, vcc
	s_cbranch_execz .LBB0_15
; %bb.14:
	global_load_dwordx4 v[0:3], v205, s[6:7]
	global_load_dwordx4 v[4:7], v205, s[6:7] offset:176
	global_load_dwordx4 v[8:11], v205, s[6:7] offset:352
	;; [unrolled: 1-line block ×6, first 2 shown]
	ds_read_b128 v[28:31], v153
	ds_read_b128 v[32:35], v153 offset:176
	ds_read_b128 v[36:39], v153 offset:352
	;; [unrolled: 1-line block ×7, first 2 shown]
	global_load_dwordx4 v[60:63], v205, s[6:7] offset:1232
	global_load_dwordx4 v[64:67], v205, s[6:7] offset:1408
	;; [unrolled: 1-line block ×5, first 2 shown]
	v_mad_u64_u32 v[80:81], s[4:5], s2, v104, 0
	v_mad_u64_u32 v[82:83], s[8:9], s0, v206, 0
	s_mul_i32 s2, s1, 0xb0
	s_mul_hi_u32 s8, s0, 0xb0
	s_add_i32 s8, s8, s2
	v_mad_u64_u32 v[84:85], s[2:3], s3, v104, v[81:82]
	v_mov_b32_e32 v87, s13
	s_mulk_i32 s0, 0xb0
	v_mad_u64_u32 v[85:86], s[2:3], s1, v206, v[83:84]
	v_mov_b32_e32 v81, v84
	v_lshlrev_b64 v[80:81], 4, v[80:81]
	v_mov_b32_e32 v83, v85
	v_lshlrev_b64 v[82:83], 4, v[82:83]
	v_add_co_u32_e32 v80, vcc, s12, v80
	v_addc_co_u32_e32 v81, vcc, v87, v81, vcc
	v_add_co_u32_e32 v80, vcc, v80, v82
	v_addc_co_u32_e32 v81, vcc, v81, v83, vcc
	v_mov_b32_e32 v88, s8
	v_add_co_u32_e32 v82, vcc, s0, v80
	v_addc_co_u32_e32 v83, vcc, v81, v88, vcc
	v_mov_b32_e32 v89, s8
	;; [unrolled: 3-line block ×3, first 2 shown]
	v_add_co_u32_e32 v86, vcc, s0, v84
	v_addc_co_u32_e32 v87, vcc, v85, v90, vcc
	s_mov_b32 s4, 0x55ee191
	s_mov_b32 s5, 0x3f7ca4b3
	v_mov_b32_e32 v102, s8
	s_waitcnt vmcnt(11) lgkmcnt(7)
	v_mul_f64 v[88:89], v[30:31], v[2:3]
	v_mul_f64 v[2:3], v[28:29], v[2:3]
	s_waitcnt vmcnt(10) lgkmcnt(6)
	v_mul_f64 v[90:91], v[34:35], v[6:7]
	v_mul_f64 v[6:7], v[32:33], v[6:7]
	;; [unrolled: 3-line block ×6, first 2 shown]
	v_fma_f64 v[28:29], v[28:29], v[0:1], v[88:89]
	v_fma_f64 v[2:3], v[0:1], v[30:31], -v[2:3]
	v_fma_f64 v[30:31], v[32:33], v[4:5], v[90:91]
	v_fma_f64 v[6:7], v[4:5], v[34:35], -v[6:7]
	;; [unrolled: 2-line block ×4, first 2 shown]
	s_waitcnt vmcnt(5) lgkmcnt(1)
	v_mul_f64 v[100:101], v[54:55], v[26:27]
	v_fma_f64 v[36:37], v[44:45], v[16:17], v[96:97]
	v_fma_f64 v[18:19], v[16:17], v[46:47], -v[18:19]
	v_mul_f64 v[0:1], v[28:29], s[4:5]
	v_mul_f64 v[2:3], v[2:3], s[4:5]
	v_fma_f64 v[28:29], v[48:49], v[20:21], v[98:99]
	v_fma_f64 v[20:21], v[20:21], v[50:51], -v[22:23]
	v_mul_f64 v[4:5], v[30:31], s[4:5]
	v_mul_f64 v[6:7], v[6:7], s[4:5]
	;; [unrolled: 1-line block ×9, first 2 shown]
	global_store_dwordx4 v[80:81], v[0:3], off
	global_store_dwordx4 v[82:83], v[4:7], off
	;; [unrolled: 1-line block ×4, first 2 shown]
	v_mul_f64 v[0:1], v[28:29], s[4:5]
	v_mul_f64 v[2:3], v[20:21], s[4:5]
	v_fma_f64 v[6:7], v[52:53], v[24:25], v[100:101]
	v_add_co_u32_e32 v4, vcc, s0, v86
	v_fma_f64 v[8:9], v[24:25], v[54:55], -v[26:27]
	s_waitcnt vmcnt(8) lgkmcnt(0)
	v_mul_f64 v[10:11], v[58:59], v[62:63]
	v_mul_f64 v[12:13], v[56:57], v[62:63]
	v_addc_co_u32_e32 v5, vcc, v87, v102, vcc
	v_mov_b32_e32 v15, s8
	v_add_co_u32_e32 v14, vcc, s0, v4
	v_addc_co_u32_e32 v15, vcc, v5, v15, vcc
	global_store_dwordx4 v[4:5], v[16:19], off
	global_store_dwordx4 v[14:15], v[0:3], off
	v_fma_f64 v[16:17], v[56:57], v[60:61], v[10:11]
	v_mul_f64 v[0:1], v[6:7], s[4:5]
	ds_read_b128 v[4:7], v153 offset:1408
	v_mul_f64 v[2:3], v[8:9], s[4:5]
	ds_read_b128 v[8:11], v153 offset:1584
	v_fma_f64 v[12:13], v[60:61], v[58:59], -v[12:13]
	v_mov_b32_e32 v22, s8
	s_waitcnt vmcnt(9) lgkmcnt(1)
	v_mul_f64 v[18:19], v[6:7], v[66:67]
	v_mul_f64 v[20:21], v[4:5], v[66:67]
	v_add_co_u32_e32 v14, vcc, s0, v14
	v_addc_co_u32_e32 v15, vcc, v15, v22, vcc
	global_store_dwordx4 v[14:15], v[0:3], off
	v_add_co_u32_e32 v14, vcc, s0, v14
	v_mul_f64 v[0:1], v[16:17], s[4:5]
	v_mul_f64 v[2:3], v[12:13], s[4:5]
	v_fma_f64 v[4:5], v[4:5], v[64:65], v[18:19]
	v_fma_f64 v[6:7], v[64:65], v[6:7], -v[20:21]
	s_waitcnt vmcnt(9) lgkmcnt(0)
	v_mul_f64 v[12:13], v[10:11], v[70:71]
	v_mul_f64 v[16:17], v[8:9], v[70:71]
	v_addc_co_u32_e32 v15, vcc, v15, v22, vcc
	v_mov_b32_e32 v18, s8
	global_store_dwordx4 v[14:15], v[0:3], off
	v_add_co_u32_e32 v14, vcc, s0, v14
	v_mul_f64 v[0:1], v[4:5], s[4:5]
	v_mul_f64 v[2:3], v[6:7], s[4:5]
	v_fma_f64 v[12:13], v[8:9], v[68:69], v[12:13]
	v_fma_f64 v[16:17], v[68:69], v[10:11], -v[16:17]
	ds_read_b128 v[4:7], v153 offset:1760
	ds_read_b128 v[8:11], v153 offset:1936
	v_addc_co_u32_e32 v15, vcc, v15, v18, vcc
	s_waitcnt vmcnt(9) lgkmcnt(1)
	v_mul_f64 v[18:19], v[6:7], v[74:75]
	v_mul_f64 v[20:21], v[4:5], v[74:75]
	s_waitcnt vmcnt(8) lgkmcnt(0)
	v_mul_f64 v[22:23], v[10:11], v[78:79]
	v_mul_f64 v[24:25], v[8:9], v[78:79]
	global_store_dwordx4 v[14:15], v[0:3], off
	v_fma_f64 v[4:5], v[4:5], v[72:73], v[18:19]
	v_mul_f64 v[0:1], v[12:13], s[4:5]
	v_mul_f64 v[2:3], v[16:17], s[4:5]
	v_fma_f64 v[6:7], v[72:73], v[6:7], -v[20:21]
	v_fma_f64 v[8:9], v[8:9], v[76:77], v[22:23]
	v_fma_f64 v[10:11], v[76:77], v[10:11], -v[24:25]
	v_mov_b32_e32 v13, s8
	v_add_co_u32_e32 v12, vcc, s0, v14
	v_addc_co_u32_e32 v13, vcc, v15, v13, vcc
	global_store_dwordx4 v[12:13], v[0:3], off
	v_mov_b32_e32 v14, s8
	v_mul_f64 v[0:1], v[4:5], s[4:5]
	v_mul_f64 v[2:3], v[6:7], s[4:5]
	;; [unrolled: 1-line block ×4, first 2 shown]
	v_add_co_u32_e32 v8, vcc, s0, v12
	v_addc_co_u32_e32 v9, vcc, v13, v14, vcc
	global_store_dwordx4 v[8:9], v[0:3], off
	s_nop 0
	v_mov_b32_e32 v0, s8
	v_add_co_u32_e32 v8, vcc, s0, v8
	v_addc_co_u32_e32 v9, vcc, v9, v0, vcc
	global_store_dwordx4 v[8:9], v[4:7], off
	global_load_dwordx4 v[0:3], v205, s[6:7] offset:2112
	ds_read_b128 v[4:7], v153 offset:2112
	s_waitcnt vmcnt(0) lgkmcnt(0)
	v_mul_f64 v[10:11], v[6:7], v[2:3]
	v_mul_f64 v[2:3], v[4:5], v[2:3]
	v_fma_f64 v[4:5], v[4:5], v[0:1], v[10:11]
	v_fma_f64 v[2:3], v[0:1], v[6:7], -v[2:3]
	v_mul_f64 v[0:1], v[4:5], s[4:5]
	v_mul_f64 v[2:3], v[2:3], s[4:5]
	v_mov_b32_e32 v5, s8
	v_add_co_u32_e32 v4, vcc, s0, v8
	v_addc_co_u32_e32 v5, vcc, v9, v5, vcc
	global_store_dwordx4 v[4:5], v[0:3], off
.LBB0_15:
	s_endpgm
	.section	.rodata,"a",@progbits
	.p2align	6, 0x0
	.amdhsa_kernel bluestein_single_back_len143_dim1_dp_op_CI_CI
		.amdhsa_group_segment_fixed_size 32032
		.amdhsa_private_segment_fixed_size 0
		.amdhsa_kernarg_size 104
		.amdhsa_user_sgpr_count 6
		.amdhsa_user_sgpr_private_segment_buffer 1
		.amdhsa_user_sgpr_dispatch_ptr 0
		.amdhsa_user_sgpr_queue_ptr 0
		.amdhsa_user_sgpr_kernarg_segment_ptr 1
		.amdhsa_user_sgpr_dispatch_id 0
		.amdhsa_user_sgpr_flat_scratch_init 0
		.amdhsa_user_sgpr_private_segment_size 0
		.amdhsa_uses_dynamic_stack 0
		.amdhsa_system_sgpr_private_segment_wavefront_offset 0
		.amdhsa_system_sgpr_workgroup_id_x 1
		.amdhsa_system_sgpr_workgroup_id_y 0
		.amdhsa_system_sgpr_workgroup_id_z 0
		.amdhsa_system_sgpr_workgroup_info 0
		.amdhsa_system_vgpr_workitem_id 0
		.amdhsa_next_free_vgpr 252
		.amdhsa_next_free_sgpr 48
		.amdhsa_reserve_vcc 1
		.amdhsa_reserve_flat_scratch 0
		.amdhsa_float_round_mode_32 0
		.amdhsa_float_round_mode_16_64 0
		.amdhsa_float_denorm_mode_32 3
		.amdhsa_float_denorm_mode_16_64 3
		.amdhsa_dx10_clamp 1
		.amdhsa_ieee_mode 1
		.amdhsa_fp16_overflow 0
		.amdhsa_exception_fp_ieee_invalid_op 0
		.amdhsa_exception_fp_denorm_src 0
		.amdhsa_exception_fp_ieee_div_zero 0
		.amdhsa_exception_fp_ieee_overflow 0
		.amdhsa_exception_fp_ieee_underflow 0
		.amdhsa_exception_fp_ieee_inexact 0
		.amdhsa_exception_int_div_zero 0
	.end_amdhsa_kernel
	.text
.Lfunc_end0:
	.size	bluestein_single_back_len143_dim1_dp_op_CI_CI, .Lfunc_end0-bluestein_single_back_len143_dim1_dp_op_CI_CI
                                        ; -- End function
	.section	.AMDGPU.csdata,"",@progbits
; Kernel info:
; codeLenInByte = 17420
; NumSgprs: 52
; NumVgprs: 252
; ScratchSize: 0
; MemoryBound: 0
; FloatMode: 240
; IeeeMode: 1
; LDSByteSize: 32032 bytes/workgroup (compile time only)
; SGPRBlocks: 6
; VGPRBlocks: 62
; NumSGPRsForWavesPerEU: 52
; NumVGPRsForWavesPerEU: 252
; Occupancy: 1
; WaveLimiterHint : 1
; COMPUTE_PGM_RSRC2:SCRATCH_EN: 0
; COMPUTE_PGM_RSRC2:USER_SGPR: 6
; COMPUTE_PGM_RSRC2:TRAP_HANDLER: 0
; COMPUTE_PGM_RSRC2:TGID_X_EN: 1
; COMPUTE_PGM_RSRC2:TGID_Y_EN: 0
; COMPUTE_PGM_RSRC2:TGID_Z_EN: 0
; COMPUTE_PGM_RSRC2:TIDIG_COMP_CNT: 0
	.type	__hip_cuid_ca06c029c1347c41,@object ; @__hip_cuid_ca06c029c1347c41
	.section	.bss,"aw",@nobits
	.globl	__hip_cuid_ca06c029c1347c41
__hip_cuid_ca06c029c1347c41:
	.byte	0                               ; 0x0
	.size	__hip_cuid_ca06c029c1347c41, 1

	.ident	"AMD clang version 19.0.0git (https://github.com/RadeonOpenCompute/llvm-project roc-6.4.0 25133 c7fe45cf4b819c5991fe208aaa96edf142730f1d)"
	.section	".note.GNU-stack","",@progbits
	.addrsig
	.addrsig_sym __hip_cuid_ca06c029c1347c41
	.amdgpu_metadata
---
amdhsa.kernels:
  - .args:
      - .actual_access:  read_only
        .address_space:  global
        .offset:         0
        .size:           8
        .value_kind:     global_buffer
      - .actual_access:  read_only
        .address_space:  global
        .offset:         8
        .size:           8
        .value_kind:     global_buffer
      - .actual_access:  read_only
        .address_space:  global
        .offset:         16
        .size:           8
        .value_kind:     global_buffer
      - .actual_access:  read_only
        .address_space:  global
        .offset:         24
        .size:           8
        .value_kind:     global_buffer
      - .actual_access:  read_only
        .address_space:  global
        .offset:         32
        .size:           8
        .value_kind:     global_buffer
      - .offset:         40
        .size:           8
        .value_kind:     by_value
      - .address_space:  global
        .offset:         48
        .size:           8
        .value_kind:     global_buffer
      - .address_space:  global
        .offset:         56
        .size:           8
        .value_kind:     global_buffer
      - .address_space:  global
        .offset:         64
        .size:           8
        .value_kind:     global_buffer
      - .address_space:  global
        .offset:         72
        .size:           8
        .value_kind:     global_buffer
      - .offset:         80
        .size:           4
        .value_kind:     by_value
      - .address_space:  global
        .offset:         88
        .size:           8
        .value_kind:     global_buffer
      - .address_space:  global
        .offset:         96
        .size:           8
        .value_kind:     global_buffer
    .group_segment_fixed_size: 32032
    .kernarg_segment_align: 8
    .kernarg_segment_size: 104
    .language:       OpenCL C
    .language_version:
      - 2
      - 0
    .max_flat_workgroup_size: 182
    .name:           bluestein_single_back_len143_dim1_dp_op_CI_CI
    .private_segment_fixed_size: 0
    .sgpr_count:     52
    .sgpr_spill_count: 0
    .symbol:         bluestein_single_back_len143_dim1_dp_op_CI_CI.kd
    .uniform_work_group_size: 1
    .uses_dynamic_stack: false
    .vgpr_count:     252
    .vgpr_spill_count: 0
    .wavefront_size: 64
amdhsa.target:   amdgcn-amd-amdhsa--gfx906
amdhsa.version:
  - 1
  - 2
...

	.end_amdgpu_metadata
